;; amdgpu-corpus repo=ROCm/rocFFT kind=compiled arch=gfx1201 opt=O3
	.text
	.amdgcn_target "amdgcn-amd-amdhsa--gfx1201"
	.amdhsa_code_object_version 6
	.protected	fft_rtc_fwd_len1092_factors_2_2_13_7_3_wgs_52_tpt_52_halfLds_dp_ip_CI_unitstride_sbrr_R2C_dirReg ; -- Begin function fft_rtc_fwd_len1092_factors_2_2_13_7_3_wgs_52_tpt_52_halfLds_dp_ip_CI_unitstride_sbrr_R2C_dirReg
	.globl	fft_rtc_fwd_len1092_factors_2_2_13_7_3_wgs_52_tpt_52_halfLds_dp_ip_CI_unitstride_sbrr_R2C_dirReg
	.p2align	8
	.type	fft_rtc_fwd_len1092_factors_2_2_13_7_3_wgs_52_tpt_52_halfLds_dp_ip_CI_unitstride_sbrr_R2C_dirReg,@function
fft_rtc_fwd_len1092_factors_2_2_13_7_3_wgs_52_tpt_52_halfLds_dp_ip_CI_unitstride_sbrr_R2C_dirReg: ; @fft_rtc_fwd_len1092_factors_2_2_13_7_3_wgs_52_tpt_52_halfLds_dp_ip_CI_unitstride_sbrr_R2C_dirReg
; %bb.0:
	s_clause 0x2
	s_load_b128 s[4:7], s[0:1], 0x0
	s_load_b64 s[8:9], s[0:1], 0x50
	s_load_b64 s[10:11], s[0:1], 0x18
	v_mul_u32_u24_e32 v1, 0x4ed, v0
	v_mov_b32_e32 v3, 0
	s_delay_alu instid0(VALU_DEP_2) | instskip(NEXT) | instid1(VALU_DEP_1)
	v_lshrrev_b32_e32 v1, 16, v1
	v_add_nc_u32_e32 v5, ttmp9, v1
	v_mov_b32_e32 v1, 0
	v_mov_b32_e32 v2, 0
	;; [unrolled: 1-line block ×3, first 2 shown]
	s_wait_kmcnt 0x0
	v_cmp_lt_u64_e64 s2, s[6:7], 2
	s_delay_alu instid0(VALU_DEP_1)
	s_and_b32 vcc_lo, exec_lo, s2
	s_cbranch_vccnz .LBB0_8
; %bb.1:
	s_load_b64 s[2:3], s[0:1], 0x10
	v_mov_b32_e32 v1, 0
	v_mov_b32_e32 v2, 0
	s_add_nc_u64 s[12:13], s[10:11], 8
	s_mov_b64 s[14:15], 1
	s_wait_kmcnt 0x0
	s_add_nc_u64 s[16:17], s[2:3], 8
	s_mov_b32 s3, 0
.LBB0_2:                                ; =>This Inner Loop Header: Depth=1
	s_load_b64 s[18:19], s[16:17], 0x0
                                        ; implicit-def: $vgpr7_vgpr8
	s_mov_b32 s2, exec_lo
	s_wait_kmcnt 0x0
	v_or_b32_e32 v4, s19, v6
	s_delay_alu instid0(VALU_DEP_1)
	v_cmpx_ne_u64_e32 0, v[3:4]
	s_wait_alu 0xfffe
	s_xor_b32 s20, exec_lo, s2
	s_cbranch_execz .LBB0_4
; %bb.3:                                ;   in Loop: Header=BB0_2 Depth=1
	s_cvt_f32_u32 s2, s18
	s_cvt_f32_u32 s21, s19
	s_sub_nc_u64 s[24:25], 0, s[18:19]
	s_wait_alu 0xfffe
	s_delay_alu instid0(SALU_CYCLE_1) | instskip(SKIP_1) | instid1(SALU_CYCLE_2)
	s_fmamk_f32 s2, s21, 0x4f800000, s2
	s_wait_alu 0xfffe
	v_s_rcp_f32 s2, s2
	s_delay_alu instid0(TRANS32_DEP_1) | instskip(SKIP_1) | instid1(SALU_CYCLE_2)
	s_mul_f32 s2, s2, 0x5f7ffffc
	s_wait_alu 0xfffe
	s_mul_f32 s21, s2, 0x2f800000
	s_wait_alu 0xfffe
	s_delay_alu instid0(SALU_CYCLE_2) | instskip(SKIP_1) | instid1(SALU_CYCLE_2)
	s_trunc_f32 s21, s21
	s_wait_alu 0xfffe
	s_fmamk_f32 s2, s21, 0xcf800000, s2
	s_cvt_u32_f32 s23, s21
	s_wait_alu 0xfffe
	s_delay_alu instid0(SALU_CYCLE_1) | instskip(SKIP_1) | instid1(SALU_CYCLE_2)
	s_cvt_u32_f32 s22, s2
	s_wait_alu 0xfffe
	s_mul_u64 s[26:27], s[24:25], s[22:23]
	s_wait_alu 0xfffe
	s_mul_hi_u32 s29, s22, s27
	s_mul_i32 s28, s22, s27
	s_mul_hi_u32 s2, s22, s26
	s_mul_i32 s30, s23, s26
	s_wait_alu 0xfffe
	s_add_nc_u64 s[28:29], s[2:3], s[28:29]
	s_mul_hi_u32 s21, s23, s26
	s_mul_hi_u32 s31, s23, s27
	s_add_co_u32 s2, s28, s30
	s_wait_alu 0xfffe
	s_add_co_ci_u32 s2, s29, s21
	s_mul_i32 s26, s23, s27
	s_add_co_ci_u32 s27, s31, 0
	s_wait_alu 0xfffe
	s_add_nc_u64 s[26:27], s[2:3], s[26:27]
	s_wait_alu 0xfffe
	v_add_co_u32 v4, s2, s22, s26
	s_delay_alu instid0(VALU_DEP_1) | instskip(SKIP_1) | instid1(VALU_DEP_1)
	s_cmp_lg_u32 s2, 0
	s_add_co_ci_u32 s23, s23, s27
	v_readfirstlane_b32 s22, v4
	s_wait_alu 0xfffe
	s_delay_alu instid0(VALU_DEP_1)
	s_mul_u64 s[24:25], s[24:25], s[22:23]
	s_wait_alu 0xfffe
	s_mul_hi_u32 s27, s22, s25
	s_mul_i32 s26, s22, s25
	s_mul_hi_u32 s2, s22, s24
	s_mul_i32 s28, s23, s24
	s_wait_alu 0xfffe
	s_add_nc_u64 s[26:27], s[2:3], s[26:27]
	s_mul_hi_u32 s21, s23, s24
	s_mul_hi_u32 s22, s23, s25
	s_wait_alu 0xfffe
	s_add_co_u32 s2, s26, s28
	s_add_co_ci_u32 s2, s27, s21
	s_mul_i32 s24, s23, s25
	s_add_co_ci_u32 s25, s22, 0
	s_wait_alu 0xfffe
	s_add_nc_u64 s[24:25], s[2:3], s[24:25]
	s_wait_alu 0xfffe
	v_add_co_u32 v4, s2, v4, s24
	s_delay_alu instid0(VALU_DEP_1) | instskip(SKIP_1) | instid1(VALU_DEP_1)
	s_cmp_lg_u32 s2, 0
	s_add_co_ci_u32 s2, s23, s25
	v_mul_hi_u32 v13, v5, v4
	s_wait_alu 0xfffe
	v_mad_co_u64_u32 v[7:8], null, v5, s2, 0
	v_mad_co_u64_u32 v[9:10], null, v6, v4, 0
	;; [unrolled: 1-line block ×3, first 2 shown]
	s_delay_alu instid0(VALU_DEP_3) | instskip(SKIP_1) | instid1(VALU_DEP_4)
	v_add_co_u32 v4, vcc_lo, v13, v7
	s_wait_alu 0xfffd
	v_add_co_ci_u32_e32 v7, vcc_lo, 0, v8, vcc_lo
	s_delay_alu instid0(VALU_DEP_2) | instskip(SKIP_1) | instid1(VALU_DEP_2)
	v_add_co_u32 v4, vcc_lo, v4, v9
	s_wait_alu 0xfffd
	v_add_co_ci_u32_e32 v4, vcc_lo, v7, v10, vcc_lo
	s_wait_alu 0xfffd
	v_add_co_ci_u32_e32 v7, vcc_lo, 0, v12, vcc_lo
	s_delay_alu instid0(VALU_DEP_2) | instskip(SKIP_1) | instid1(VALU_DEP_2)
	v_add_co_u32 v4, vcc_lo, v4, v11
	s_wait_alu 0xfffd
	v_add_co_ci_u32_e32 v9, vcc_lo, 0, v7, vcc_lo
	s_delay_alu instid0(VALU_DEP_2) | instskip(SKIP_1) | instid1(VALU_DEP_3)
	v_mul_lo_u32 v10, s19, v4
	v_mad_co_u64_u32 v[7:8], null, s18, v4, 0
	v_mul_lo_u32 v11, s18, v9
	s_delay_alu instid0(VALU_DEP_2) | instskip(NEXT) | instid1(VALU_DEP_2)
	v_sub_co_u32 v7, vcc_lo, v5, v7
	v_add3_u32 v8, v8, v11, v10
	s_delay_alu instid0(VALU_DEP_1) | instskip(SKIP_1) | instid1(VALU_DEP_1)
	v_sub_nc_u32_e32 v10, v6, v8
	s_wait_alu 0xfffd
	v_subrev_co_ci_u32_e64 v10, s2, s19, v10, vcc_lo
	v_add_co_u32 v11, s2, v4, 2
	s_wait_alu 0xf1ff
	v_add_co_ci_u32_e64 v12, s2, 0, v9, s2
	v_sub_co_u32 v13, s2, v7, s18
	v_sub_co_ci_u32_e32 v8, vcc_lo, v6, v8, vcc_lo
	s_wait_alu 0xf1ff
	v_subrev_co_ci_u32_e64 v10, s2, 0, v10, s2
	s_delay_alu instid0(VALU_DEP_3) | instskip(NEXT) | instid1(VALU_DEP_3)
	v_cmp_le_u32_e32 vcc_lo, s18, v13
	v_cmp_eq_u32_e64 s2, s19, v8
	s_wait_alu 0xfffd
	v_cndmask_b32_e64 v13, 0, -1, vcc_lo
	v_cmp_le_u32_e32 vcc_lo, s19, v10
	s_wait_alu 0xfffd
	v_cndmask_b32_e64 v14, 0, -1, vcc_lo
	v_cmp_le_u32_e32 vcc_lo, s18, v7
	;; [unrolled: 3-line block ×3, first 2 shown]
	s_wait_alu 0xfffd
	v_cndmask_b32_e64 v15, 0, -1, vcc_lo
	v_cmp_eq_u32_e32 vcc_lo, s19, v10
	s_wait_alu 0xf1ff
	s_delay_alu instid0(VALU_DEP_2)
	v_cndmask_b32_e64 v7, v15, v7, s2
	s_wait_alu 0xfffd
	v_cndmask_b32_e32 v10, v14, v13, vcc_lo
	v_add_co_u32 v13, vcc_lo, v4, 1
	s_wait_alu 0xfffd
	v_add_co_ci_u32_e32 v14, vcc_lo, 0, v9, vcc_lo
	s_delay_alu instid0(VALU_DEP_3) | instskip(SKIP_2) | instid1(VALU_DEP_3)
	v_cmp_ne_u32_e32 vcc_lo, 0, v10
	s_wait_alu 0xfffd
	v_cndmask_b32_e32 v10, v13, v11, vcc_lo
	v_cndmask_b32_e32 v8, v14, v12, vcc_lo
	v_cmp_ne_u32_e32 vcc_lo, 0, v7
	s_wait_alu 0xfffd
	s_delay_alu instid0(VALU_DEP_2)
	v_dual_cndmask_b32 v7, v4, v10 :: v_dual_cndmask_b32 v8, v9, v8
.LBB0_4:                                ;   in Loop: Header=BB0_2 Depth=1
	s_wait_alu 0xfffe
	s_and_not1_saveexec_b32 s2, s20
	s_cbranch_execz .LBB0_6
; %bb.5:                                ;   in Loop: Header=BB0_2 Depth=1
	v_cvt_f32_u32_e32 v4, s18
	s_sub_co_i32 s20, 0, s18
	s_delay_alu instid0(VALU_DEP_1) | instskip(NEXT) | instid1(TRANS32_DEP_1)
	v_rcp_iflag_f32_e32 v4, v4
	v_mul_f32_e32 v4, 0x4f7ffffe, v4
	s_delay_alu instid0(VALU_DEP_1) | instskip(SKIP_1) | instid1(VALU_DEP_1)
	v_cvt_u32_f32_e32 v4, v4
	s_wait_alu 0xfffe
	v_mul_lo_u32 v7, s20, v4
	s_delay_alu instid0(VALU_DEP_1) | instskip(NEXT) | instid1(VALU_DEP_1)
	v_mul_hi_u32 v7, v4, v7
	v_add_nc_u32_e32 v4, v4, v7
	s_delay_alu instid0(VALU_DEP_1) | instskip(NEXT) | instid1(VALU_DEP_1)
	v_mul_hi_u32 v4, v5, v4
	v_mul_lo_u32 v7, v4, s18
	v_add_nc_u32_e32 v8, 1, v4
	s_delay_alu instid0(VALU_DEP_2) | instskip(NEXT) | instid1(VALU_DEP_1)
	v_sub_nc_u32_e32 v7, v5, v7
	v_subrev_nc_u32_e32 v9, s18, v7
	v_cmp_le_u32_e32 vcc_lo, s18, v7
	s_wait_alu 0xfffd
	s_delay_alu instid0(VALU_DEP_2) | instskip(NEXT) | instid1(VALU_DEP_1)
	v_dual_cndmask_b32 v7, v7, v9 :: v_dual_cndmask_b32 v4, v4, v8
	v_cmp_le_u32_e32 vcc_lo, s18, v7
	s_delay_alu instid0(VALU_DEP_2) | instskip(SKIP_1) | instid1(VALU_DEP_1)
	v_add_nc_u32_e32 v8, 1, v4
	s_wait_alu 0xfffd
	v_dual_cndmask_b32 v7, v4, v8 :: v_dual_mov_b32 v8, v3
.LBB0_6:                                ;   in Loop: Header=BB0_2 Depth=1
	s_wait_alu 0xfffe
	s_or_b32 exec_lo, exec_lo, s2
	s_load_b64 s[20:21], s[12:13], 0x0
	s_delay_alu instid0(VALU_DEP_1)
	v_mul_lo_u32 v4, v8, s18
	v_mul_lo_u32 v11, v7, s19
	v_mad_co_u64_u32 v[9:10], null, v7, s18, 0
	s_add_nc_u64 s[14:15], s[14:15], 1
	s_add_nc_u64 s[12:13], s[12:13], 8
	s_wait_alu 0xfffe
	v_cmp_ge_u64_e64 s2, s[14:15], s[6:7]
	s_add_nc_u64 s[16:17], s[16:17], 8
	s_delay_alu instid0(VALU_DEP_2) | instskip(NEXT) | instid1(VALU_DEP_3)
	v_add3_u32 v4, v10, v11, v4
	v_sub_co_u32 v5, vcc_lo, v5, v9
	s_wait_alu 0xfffd
	s_delay_alu instid0(VALU_DEP_2) | instskip(SKIP_3) | instid1(VALU_DEP_2)
	v_sub_co_ci_u32_e32 v4, vcc_lo, v6, v4, vcc_lo
	s_and_b32 vcc_lo, exec_lo, s2
	s_wait_kmcnt 0x0
	v_mul_lo_u32 v6, s21, v5
	v_mul_lo_u32 v4, s20, v4
	v_mad_co_u64_u32 v[1:2], null, s20, v5, v[1:2]
	s_delay_alu instid0(VALU_DEP_1)
	v_add3_u32 v2, v6, v2, v4
	s_wait_alu 0xfffe
	s_cbranch_vccnz .LBB0_9
; %bb.7:                                ;   in Loop: Header=BB0_2 Depth=1
	v_dual_mov_b32 v5, v7 :: v_dual_mov_b32 v6, v8
	s_branch .LBB0_2
.LBB0_8:
	v_dual_mov_b32 v8, v6 :: v_dual_mov_b32 v7, v5
.LBB0_9:
	s_lshl_b64 s[2:3], s[6:7], 3
	v_mul_hi_u32 v3, 0x4ec4ec5, v0
	s_wait_alu 0xfffe
	s_add_nc_u64 s[2:3], s[10:11], s[2:3]
	s_load_b64 s[0:1], s[0:1], 0x20
	s_load_b64 s[2:3], s[2:3], 0x0
	s_delay_alu instid0(VALU_DEP_1) | instskip(NEXT) | instid1(VALU_DEP_1)
	v_mul_u32_u24_e32 v3, 52, v3
	v_sub_nc_u32_e32 v112, v0, v3
	s_delay_alu instid0(VALU_DEP_1)
	v_add_nc_u32_e32 v117, 52, v112
	v_add_nc_u32_e32 v126, 0x68, v112
	;; [unrolled: 1-line block ×4, first 2 shown]
	s_wait_kmcnt 0x0
	v_cmp_gt_u64_e32 vcc_lo, s[0:1], v[7:8]
	v_mul_lo_u32 v3, s2, v8
	v_mad_co_u64_u32 v[0:1], null, s2, v7, v[1:2]
	v_add_nc_u32_e32 v2, 0x104, v112
	v_mul_lo_u32 v4, s3, v7
	v_cmp_le_u64_e64 s0, s[0:1], v[7:8]
	scratch_store_b64 off, v[2:3], off offset:32 ; 8-byte Folded Spill
	v_add_nc_u32_e32 v2, 0x138, v112
	v_add3_u32 v1, v4, v1, v3
	scratch_store_b64 off, v[2:3], off offset:24 ; 8-byte Folded Spill
	v_add_nc_u32_e32 v2, 0x16c, v112
	scratch_store_b64 off, v[2:3], off offset:16 ; 8-byte Folded Spill
	v_add_nc_u32_e32 v2, 0x1a0, v112
	;; [unrolled: 2-line block ×3, first 2 shown]
	scratch_store_b64 off, v[2:3], off      ; 8-byte Folded Spill
	v_add_nc_u32_e32 v2, 0x208, v112
	scratch_store_b64 off, v[2:3], off offset:40 ; 8-byte Folded Spill
	s_and_saveexec_b32 s1, s0
	s_wait_alu 0xfffe
	s_xor_b32 s0, exec_lo, s1
	s_cbranch_execz .LBB0_11
; %bb.10:
	v_add_nc_u32_e32 v2, 0x104, v112
	v_add_nc_u32_e32 v117, 52, v112
	;; [unrolled: 1-line block ×5, first 2 shown]
	scratch_store_b64 off, v[2:3], off offset:32 ; 8-byte Folded Spill
	v_add_nc_u32_e32 v2, 0x138, v112
	scratch_store_b64 off, v[2:3], off offset:24 ; 8-byte Folded Spill
	v_add_nc_u32_e32 v2, 0x16c, v112
	;; [unrolled: 2-line block ×4, first 2 shown]
	scratch_store_b64 off, v[2:3], off      ; 8-byte Folded Spill
	v_add_nc_u32_e32 v2, 0x208, v112
	scratch_store_b64 off, v[2:3], off offset:40 ; 8-byte Folded Spill
.LBB0_11:
	s_wait_alu 0xfffe
	s_or_saveexec_b32 s1, s0
	v_lshlrev_b64_e32 v[0:1], 4, v[0:1]
	scratch_store_b64 off, v[0:1], off offset:68 ; 8-byte Folded Spill
	s_wait_alu 0xfffe
	s_xor_b32 exec_lo, exec_lo, s1
	s_cbranch_execz .LBB0_13
; %bb.12:
	scratch_load_b64 v[2:3], off, off offset:68 ; 8-byte Folded Reload
	v_mov_b32_e32 v113, 0
	v_lshl_add_u32 v84, v112, 4, 0
	s_delay_alu instid0(VALU_DEP_2) | instskip(SKIP_4) | instid1(VALU_DEP_2)
	v_lshlrev_b64_e32 v[0:1], 4, v[112:113]
	s_wait_loadcnt 0x0
	v_add_co_u32 v2, s0, s8, v2
	s_wait_alu 0xf1ff
	v_add_co_ci_u32_e64 v3, s0, s9, v3, s0
	v_add_co_u32 v80, s0, v2, v0
	s_wait_alu 0xf1ff
	s_delay_alu instid0(VALU_DEP_2)
	v_add_co_ci_u32_e64 v81, s0, v3, v1, s0
	s_clause 0x14
	global_load_b128 v[0:3], v[80:81], off
	global_load_b128 v[4:7], v[80:81], off offset:832
	global_load_b128 v[8:11], v[80:81], off offset:1664
	;; [unrolled: 1-line block ×20, first 2 shown]
	s_wait_loadcnt 0x14
	ds_store_b128 v84, v[0:3]
	s_wait_loadcnt 0x13
	ds_store_b128 v84, v[4:7] offset:832
	s_wait_loadcnt 0x12
	ds_store_b128 v84, v[8:11] offset:1664
	;; [unrolled: 2-line block ×20, first 2 shown]
.LBB0_13:
	s_or_b32 exec_lo, exec_lo, s1
	v_lshlrev_b32_e32 v96, 4, v112
	global_wb scope:SCOPE_SE
	s_wait_storecnt_dscnt 0x0
	s_barrier_signal -1
	s_barrier_wait -1
	global_inv scope:SCOPE_SE
	v_add_nc_u32_e32 v132, 0, v96
	v_cmp_gt_u32_e64 s0, 26, v112
	ds_load_b128 v[0:3], v132 offset:8736
	ds_load_b128 v[4:7], v132
	ds_load_b128 v[8:11], v132 offset:832
	ds_load_b128 v[12:15], v132 offset:9568
	;; [unrolled: 1-line block ×20, first 2 shown]
	s_wait_dscnt 0x14
	v_add_f64_e64 v[88:89], v[4:5], -v[0:1]
	v_add_f64_e64 v[90:91], v[6:7], -v[2:3]
	s_wait_dscnt 0x12
	v_add_f64_e64 v[12:13], v[8:9], -v[12:13]
	v_add_f64_e64 v[14:15], v[10:11], -v[14:15]
	;; [unrolled: 3-line block ×9, first 2 shown]
	s_wait_dscnt 0x1
	v_add_f64_e64 v[80:81], v[76:77], -v[80:81]
	s_wait_dscnt 0x0
	v_add_f64_e64 v[0:1], v[68:69], -v[84:85]
	scratch_load_b64 v[84:85], off, off offset:32 ; 8-byte Folded Reload
	v_add_f64_e64 v[2:3], v[70:71], -v[86:87]
	v_add_f64_e64 v[82:83], v[78:79], -v[82:83]
	v_fma_f64 v[4:5], v[4:5], 2.0, -v[88:89]
	v_fma_f64 v[6:7], v[6:7], 2.0, -v[90:91]
	;; [unrolled: 1-line block ×20, first 2 shown]
	v_lshl_add_u32 v68, v117, 5, 0
	v_fma_f64 v[30:31], v[70:71], 2.0, -v[2:3]
	v_fma_f64 v[78:79], v[78:79], 2.0, -v[82:83]
	v_lshl_add_u32 v69, v126, 5, 0
	v_lshl_add_u32 v70, v125, 5, 0
	;; [unrolled: 1-line block ×3, first 2 shown]
	s_wait_loadcnt 0x0
	v_lshl_add_u32 v87, v84, 5, 0
	scratch_load_b64 v[84:85], off, off offset:24 ; 8-byte Folded Reload
	s_wait_loadcnt 0x0
	v_lshl_add_u32 v98, v84, 5, 0
	scratch_load_b64 v[84:85], off, off offset:16 ; 8-byte Folded Reload
	;; [unrolled: 3-line block ×3, first 2 shown]
	s_wait_loadcnt 0x0
	v_lshl_add_u32 v86, v84, 5, 0
	scratch_load_b64 v[84:85], off, off     ; 8-byte Folded Reload
	global_wb scope:SCOPE_SE
	s_wait_loadcnt 0x0
	s_barrier_signal -1
	s_barrier_wait -1
	global_inv scope:SCOPE_SE
	v_lshl_add_u32 v85, v84, 5, 0
	v_add_nc_u32_e32 v84, v132, v96
	ds_store_b128 v84, v[4:7]
	ds_store_b128 v84, v[88:91] offset:16
	ds_store_b128 v68, v[8:11]
	ds_store_b128 v68, v[12:15] offset:16
	;; [unrolled: 2-line block ×8, first 2 shown]
	ds_store_b128 v86, v[72:75]
	scratch_store_b32 off, v86, off offset:48 ; 4-byte Folded Spill
	ds_store_b128 v86, v[64:67] offset:16
	ds_store_b128 v85, v[76:79]
	ds_store_b128 v85, v[80:83] offset:16
	s_and_saveexec_b32 s1, s0
	s_cbranch_execz .LBB0_15
; %bb.14:
	scratch_load_b64 v[4:5], off, off offset:40 ; 8-byte Folded Reload
	s_wait_loadcnt 0x0
	v_lshl_add_u32 v4, v4, 5, 0
	ds_store_b128 v4, v[28:31]
	ds_store_b128 v4, v[0:3] offset:16
.LBB0_15:
	s_wait_alu 0xfffe
	s_or_b32 exec_lo, exec_lo, s1
	global_wb scope:SCOPE_SE
	s_wait_storecnt_dscnt 0x0
	s_barrier_signal -1
	s_barrier_wait -1
	global_inv scope:SCOPE_SE
	ds_load_b128 v[8:11], v132
	ds_load_b128 v[4:7], v132 offset:8736
	ds_load_b128 v[16:19], v132 offset:9568
	;; [unrolled: 1-line block ×3, first 2 shown]
	scratch_load_b64 v[20:21], off, off offset:32 ; 8-byte Folded Reload
	v_lshl_add_u32 v23, v126, 4, 0
	v_lshl_add_u32 v22, v125, 4, 0
	v_lshl_add_u32 v39, v124, 4, 0
	v_lshl_add_u32 v60, v117, 4, 0
	s_clause 0x1
	scratch_store_b32 off, v23, off offset:88
	scratch_store_b32 off, v22, off offset:84
	ds_load_b128 v[32:35], v23
	ds_load_b128 v[24:27], v22
	s_wait_loadcnt 0x0
	v_mov_b32_e32 v92, v20
	ds_load_b128 v[64:67], v132 offset:11232
	ds_load_b128 v[20:23], v132 offset:12064
	v_lshlrev_b32_e32 v36, 4, v92
	s_clause 0x1
	scratch_store_b32 off, v87, off offset:100
	scratch_store_b32 off, v36, off offset:116
	scratch_load_b64 v[37:38], off, off offset:24 ; 8-byte Folded Reload
	scratch_store_b32 off, v39, off offset:80 ; 4-byte Folded Spill
	s_wait_loadcnt 0x0
	v_mov_b32_e32 v91, v37
	scratch_load_b64 v[37:38], off, off offset:16 ; 8-byte Folded Reload
	v_lshlrev_b32_e32 v92, 1, v92
	v_lshlrev_b32_e32 v44, 4, v91
	s_wait_loadcnt 0x0
	v_dual_mov_b32 v90, v37 :: v_dual_lshlrev_b32 v91, 1, v91
	scratch_load_b64 v[37:38], off, off offset:8 ; 8-byte Folded Reload
	s_wait_loadcnt 0x0
	v_mov_b32_e32 v89, v37
	scratch_load_b64 v[37:38], off, off     ; 8-byte Folded Reload
	v_sub_nc_u32_e32 v36, v87, v36
	v_lshlrev_b32_e32 v47, 4, v89
	v_lshlrev_b32_e32 v45, 4, v90
	;; [unrolled: 1-line block ×3, first 2 shown]
	s_wait_loadcnt 0x0
	v_dual_mov_b32 v88, v37 :: v_dual_lshlrev_b32 v89, 1, v89
	ds_load_b128 v[40:43], v39
	ds_load_b128 v[36:39], v36
	s_clause 0x3
	scratch_store_b32 off, v98, off offset:108
	scratch_store_b32 off, v44, off offset:120
	;; [unrolled: 1-line block ×4, first 2 shown]
	scratch_load_b32 v46, off, off offset:48 ; 4-byte Folded Reload
	v_lshlrev_b32_e32 v48, 4, v88
	v_sub_nc_u32_e32 v44, v98, v44
	v_sub_nc_u32_e32 v45, v97, v45
	s_clause 0x2
	scratch_store_b32 off, v47, off offset:96
	scratch_store_b32 off, v85, off offset:112
	;; [unrolled: 1-line block ×3, first 2 shown]
	v_lshlrev_b32_e32 v88, 1, v88
	s_wait_loadcnt 0x0
	v_sub_nc_u32_e32 v46, v46, v47
	v_sub_nc_u32_e32 v47, v85, v48
	ds_load_b128 v[72:75], v132 offset:12896
	ds_load_b128 v[68:71], v132 offset:13728
	ds_load_b128 v[56:59], v44
	ds_load_b128 v[52:55], v45
	;; [unrolled: 1-line block ×4, first 2 shown]
	ds_load_b128 v[84:87], v132 offset:14560
	ds_load_b128 v[76:79], v132 offset:15392
	scratch_store_b32 off, v60, off offset:92 ; 4-byte Folded Spill
	ds_load_b128 v[60:63], v60
	ds_load_b128 v[80:83], v132 offset:16224
	s_clause 0x1
	scratch_store_b64 off, v[92:93], off offset:60
	scratch_store_b64 off, v[91:92], off offset:52
	scratch_load_b64 v[91:92], off, off offset:40 ; 8-byte Folded Reload
	s_wait_loadcnt 0x0
	v_lshl_add_u32 v91, v91, 4, 0
	scratch_store_b32 off, v91, off offset:76 ; 4-byte Folded Spill
	s_and_saveexec_b32 s1, s0
	s_cbranch_execz .LBB0_17
; %bb.16:
	scratch_load_b32 v0, off, off offset:76 ; 4-byte Folded Reload
	s_wait_loadcnt 0x0
	ds_load_b128 v[28:31], v0
	ds_load_b128 v[0:3], v132 offset:17056
.LBB0_17:
	s_wait_alu 0xfffe
	s_or_b32 exec_lo, exec_lo, s1
	v_and_b32_e32 v91, 1, v112
	s_delay_alu instid0(VALU_DEP_1)
	v_lshlrev_b32_e32 v92, 4, v91
	global_load_b128 v[92:95], v92, s[4:5]
	s_wait_loadcnt_dscnt 0x12
	v_mul_f64_e32 v[96:97], v[6:7], v[94:95]
	v_mul_f64_e32 v[98:99], v[4:5], v[94:95]
	s_wait_dscnt 0x11
	v_mul_f64_e32 v[100:101], v[18:19], v[94:95]
	v_mul_f64_e32 v[102:103], v[16:17], v[94:95]
	s_wait_dscnt 0x10
	;; [unrolled: 3-line block ×9, first 2 shown]
	v_mul_f64_e32 v[152:153], v[82:83], v[94:95]
	v_mul_f64_e32 v[154:155], v[80:81], v[94:95]
	;; [unrolled: 1-line block ×4, first 2 shown]
	v_fma_f64 v[4:5], v[4:5], v[92:93], -v[96:97]
	v_fma_f64 v[6:7], v[6:7], v[92:93], v[98:99]
	v_fma_f64 v[16:17], v[16:17], v[92:93], -v[100:101]
	v_fma_f64 v[18:19], v[18:19], v[92:93], v[102:103]
	v_fma_f64 v[12:13], v[12:13], v[92:93], -v[104:105]
	v_fma_f64 v[14:15], v[14:15], v[92:93], v[106:107]
	v_fma_f64 v[96:97], v[64:65], v[92:93], -v[108:109]
	v_fma_f64 v[98:99], v[66:67], v[92:93], v[110:111]
	v_fma_f64 v[20:21], v[20:21], v[92:93], -v[113:114]
	v_fma_f64 v[22:23], v[22:23], v[92:93], v[115:116]
	v_fma_f64 v[100:101], v[72:73], v[92:93], -v[127:128]
	v_fma_f64 v[102:103], v[74:75], v[92:93], v[129:130]
	v_fma_f64 v[104:105], v[68:69], v[92:93], -v[140:141]
	v_fma_f64 v[106:107], v[70:71], v[92:93], v[142:143]
	v_fma_f64 v[108:109], v[84:85], v[92:93], -v[144:145]
	v_fma_f64 v[110:111], v[86:87], v[92:93], v[146:147]
	v_fma_f64 v[113:114], v[76:77], v[92:93], -v[148:149]
	v_fma_f64 v[115:116], v[78:79], v[92:93], v[150:151]
	v_fma_f64 v[127:128], v[80:81], v[92:93], -v[152:153]
	v_fma_f64 v[129:130], v[82:83], v[92:93], v[154:155]
	v_fma_f64 v[140:141], v[0:1], v[92:93], -v[156:157]
	v_fma_f64 v[92:93], v[2:3], v[92:93], v[94:95]
	v_add_f64_e64 v[64:65], v[8:9], -v[4:5]
	v_add_f64_e64 v[66:67], v[10:11], -v[6:7]
	;; [unrolled: 1-line block ×22, first 2 shown]
	v_lshlrev_b32_e32 v92, 1, v117
	v_lshlrev_b32_e32 v127, 1, v112
	s_delay_alu instid0(VALU_DEP_2) | instskip(SKIP_1) | instid1(VALU_DEP_3)
	v_and_or_b32 v105, 0xfc, v92, v91
	v_lshlrev_b32_e32 v92, 1, v126
	v_and_or_b32 v104, 0x7c, v127, v91
	s_delay_alu instid0(VALU_DEP_2) | instskip(SKIP_1) | instid1(VALU_DEP_1)
	v_and_or_b32 v106, 0x1fc, v92, v91
	v_lshlrev_b32_e32 v92, 1, v125
	v_and_or_b32 v107, 0x1fc, v92, v91
	v_lshlrev_b32_e32 v92, 1, v124
	v_fma_f64 v[94:95], v[10:11], 2.0, -v[66:67]
	v_fma_f64 v[96:97], v[32:33], 2.0, -v[72:73]
	;; [unrolled: 1-line block ×4, first 2 shown]
	v_and_or_b32 v108, 0x3fc, v92, v91
	scratch_load_b64 v[92:93], off, off offset:60 ; 8-byte Folded Reload
	v_fma_f64 v[102:103], v[26:27], 2.0, -v[78:79]
	v_fma_f64 v[60:61], v[60:61], 2.0, -v[68:69]
	;; [unrolled: 1-line block ×16, first 2 shown]
	v_and_or_b32 v46, 0x7fc, v88, v91
	v_lshl_add_u32 v47, v104, 4, 0
	v_lshl_add_u32 v48, v105, 4, 0
	;; [unrolled: 1-line block ×6, first 2 shown]
	s_wait_loadcnt 0x0
	v_and_or_b32 v109, 0x2fc, v92, v91
	scratch_load_b64 v[92:93], off, off offset:52 ; 8-byte Folded Reload
	global_wb scope:SCOPE_SE
	s_wait_loadcnt 0x0
	s_wait_storecnt 0x0
	s_barrier_signal -1
	s_barrier_wait -1
	global_inv scope:SCOPE_SE
	v_lshl_add_u32 v52, v109, 4, 0
	v_and_or_b32 v110, 0x2fc, v92, v91
	v_fma_f64 v[92:93], v[8:9], 2.0, -v[64:65]
	v_fma_f64 v[8:9], v[44:45], 2.0, -v[16:17]
	v_and_or_b32 v44, 0x3fc, v90, v91
	v_and_or_b32 v45, 0x3fc, v89, v91
	v_lshl_add_u32 v53, v110, 4, 0
	s_delay_alu instid0(VALU_DEP_3) | instskip(NEXT) | instid1(VALU_DEP_3)
	v_lshl_add_u32 v44, v44, 4, 0
	v_lshl_add_u32 v45, v45, 4, 0
	ds_store_b128 v47, v[92:95]
	ds_store_b128 v47, v[64:67] offset:32
	ds_store_b128 v48, v[60:63]
	ds_store_b128 v48, v[68:71] offset:32
	;; [unrolled: 2-line block ×10, first 2 shown]
	s_and_saveexec_b32 s1, s0
	s_cbranch_execz .LBB0_19
; %bb.18:
	scratch_load_b64 v[36:37], off, off offset:40 ; 8-byte Folded Reload
	s_wait_loadcnt 0x0
	v_lshlrev_b32_e32 v36, 1, v36
	s_delay_alu instid0(VALU_DEP_1) | instskip(NEXT) | instid1(VALU_DEP_1)
	v_and_or_b32 v36, 0x47c, v36, v91
	v_lshl_add_u32 v36, v36, 4, 0
	ds_store_b128 v36, v[28:31]
	ds_store_b128 v36, v[4:7] offset:32
.LBB0_19:
	s_wait_alu 0xfffe
	s_or_b32 exec_lo, exec_lo, s1
	global_wb scope:SCOPE_SE
	s_wait_dscnt 0x0
	s_barrier_signal -1
	s_barrier_wait -1
	global_inv scope:SCOPE_SE
	ds_load_b128 v[100:103], v132
	ds_load_b128 v[80:83], v132 offset:1344
	ds_load_b128 v[76:79], v132 offset:2688
	;; [unrolled: 1-line block ×12, first 2 shown]
	v_cmp_gt_u32_e64 s1, 32, v112
                                        ; implicit-def: $vgpr58_vgpr59
                                        ; implicit-def: $vgpr54_vgpr55
                                        ; implicit-def: $vgpr50_vgpr51
                                        ; implicit-def: $vgpr46_vgpr47
	s_delay_alu instid0(VALU_DEP_1)
	s_and_saveexec_b32 s2, s1
	s_cbranch_execz .LBB0_21
; %bb.20:
	v_lshl_add_u32 v0, v117, 4, 0
	ds_load_b128 v[0:3], v0
	ds_load_b128 v[24:27], v132 offset:2176
	ds_load_b128 v[12:15], v132 offset:3520
	;; [unrolled: 1-line block ×12, first 2 shown]
.LBB0_21:
	s_wait_alu 0xfffe
	s_or_b32 exec_lo, exec_lo, s2
	v_and_b32_e32 v139, 3, v112
	s_mov_b32 s6, 0x4267c47c
	s_mov_b32 s14, 0x42a4c3d2
	s_mov_b32 s18, 0x66966769
	s_mov_b32 s20, 0x2ef20147
	v_mul_u32_u24_e32 v68, 12, v139
	s_mov_b32 s26, 0x24c2f84
	s_mov_b32 s28, 0x4bc48dbf
	;; [unrolled: 1-line block ×4, first 2 shown]
	v_lshlrev_b32_e32 v118, 4, v68
	s_mov_b32 s19, 0xbfefc445
	s_mov_b32 s21, 0xbfedeba7
	s_mov_b32 s27, 0xbfe5384d
	s_mov_b32 s29, 0xbfcea1e5
	s_clause 0x1
	global_load_b128 v[68:71], v118, s[4:5] offset:32
	global_load_b128 v[72:75], v118, s[4:5] offset:48
	s_mov_b32 s10, 0xe00740e9
	s_mov_b32 s2, 0x1ea71119
	s_mov_b32 s12, 0xebaa3ed8
	s_mov_b32 s16, 0xb2365da1
	s_mov_b32 s22, 0xd0032e0c
	s_mov_b32 s24, 0x93053d00
	s_mov_b32 s11, 0x3fec55a7
	s_mov_b32 s3, 0x3fe22d96
	s_mov_b32 s13, 0x3fbedb7d
	s_mov_b32 s17, 0xbfd6b1d8
	s_mov_b32 s23, 0xbfe7f3cc
	s_mov_b32 s25, 0xbfef11f4
	s_mov_b32 s31, 0x3fe5384d
	s_wait_alu 0xfffe
	s_mov_b32 s30, s26
	s_mov_b32 s35, 0x3fefc445
	;; [unrolled: 1-line block ×11, first 2 shown]
	s_wait_loadcnt_dscnt 0x10b
	v_mul_f64_e32 v[113:114], v[82:83], v[70:71]
	s_delay_alu instid0(VALU_DEP_1) | instskip(SKIP_1) | instid1(VALU_DEP_1)
	v_fma_f64 v[113:114], v[80:81], v[68:69], -v[113:114]
	v_mul_f64_e32 v[80:81], v[80:81], v[70:71]
	v_fma_f64 v[115:116], v[82:83], v[68:69], v[80:81]
	s_wait_loadcnt_dscnt 0xa
	v_mul_f64_e32 v[80:81], v[78:79], v[74:75]
	s_delay_alu instid0(VALU_DEP_1) | instskip(SKIP_1) | instid1(VALU_DEP_1)
	v_fma_f64 v[140:141], v[76:77], v[72:73], -v[80:81]
	v_mul_f64_e32 v[76:77], v[76:77], v[74:75]
	v_fma_f64 v[142:143], v[78:79], v[72:73], v[76:77]
	s_clause 0x1
	global_load_b128 v[76:79], v118, s[4:5] offset:64
	global_load_b128 v[80:83], v118, s[4:5] offset:80
	s_wait_loadcnt_dscnt 0x109
	v_mul_f64_e32 v[128:129], v[62:63], v[78:79]
	s_delay_alu instid0(VALU_DEP_1) | instskip(SKIP_1) | instid1(VALU_DEP_1)
	v_fma_f64 v[144:145], v[60:61], v[76:77], -v[128:129]
	v_mul_f64_e32 v[60:61], v[60:61], v[78:79]
	v_fma_f64 v[146:147], v[62:63], v[76:77], v[60:61]
	s_wait_loadcnt_dscnt 0x8
	v_mul_f64_e32 v[60:61], v[38:39], v[82:83]
	s_delay_alu instid0(VALU_DEP_1) | instskip(SKIP_1) | instid1(VALU_DEP_1)
	v_fma_f64 v[148:149], v[36:37], v[80:81], -v[60:61]
	v_mul_f64_e32 v[36:37], v[36:37], v[82:83]
	v_fma_f64 v[150:151], v[38:39], v[80:81], v[36:37]
	s_clause 0x1
	global_load_b128 v[36:39], v118, s[4:5] offset:96
	global_load_b128 v[60:63], v118, s[4:5] offset:112
	;; [unrolled: 15-line block ×3, first 2 shown]
	s_wait_loadcnt_dscnt 0x105
	v_mul_f64_e32 v[128:129], v[98:99], v[66:67]
	s_delay_alu instid0(VALU_DEP_1) | instskip(SKIP_1) | instid1(VALU_DEP_2)
	v_fma_f64 v[160:161], v[96:97], v[64:65], -v[128:129]
	v_mul_f64_e32 v[96:97], v[96:97], v[66:67]
	v_add_f64_e32 v[137:138], v[156:157], v[160:161]
	s_delay_alu instid0(VALU_DEP_2) | instskip(SKIP_2) | instid1(VALU_DEP_2)
	v_fma_f64 v[162:163], v[98:99], v[64:65], v[96:97]
	s_wait_loadcnt_dscnt 0x4
	v_mul_f64_e32 v[96:97], v[90:91], v[42:43]
	v_add_f64_e32 v[120:121], v[158:159], v[162:163]
	s_delay_alu instid0(VALU_DEP_2) | instskip(SKIP_1) | instid1(VALU_DEP_2)
	v_fma_f64 v[164:165], v[88:89], v[40:41], -v[96:97]
	v_mul_f64_e32 v[88:89], v[88:89], v[42:43]
	v_add_f64_e32 v[252:253], v[152:153], v[164:165]
	s_delay_alu instid0(VALU_DEP_2)
	v_fma_f64 v[166:167], v[90:91], v[40:41], v[88:89]
	s_clause 0x1
	global_load_b128 v[96:99], v118, s[4:5] offset:160
	global_load_b128 v[88:91], v118, s[4:5] offset:176
	v_add_f64_e32 v[254:255], v[154:155], v[166:167]
	s_wait_loadcnt_dscnt 0x103
	v_mul_f64_e32 v[128:129], v[94:95], v[98:99]
	s_delay_alu instid0(VALU_DEP_1) | instskip(SKIP_1) | instid1(VALU_DEP_2)
	v_fma_f64 v[168:169], v[92:93], v[96:97], -v[128:129]
	v_mul_f64_e32 v[92:93], v[92:93], v[98:99]
	v_add_f64_e32 v[244:245], v[148:149], v[168:169]
	s_delay_alu instid0(VALU_DEP_2) | instskip(SKIP_3) | instid1(VALU_DEP_3)
	v_fma_f64 v[170:171], v[94:95], v[96:97], v[92:93]
	s_wait_loadcnt_dscnt 0x2
	v_mul_f64_e32 v[92:93], v[86:87], v[90:91]
	v_add_f64_e64 v[250:251], v[148:149], -v[168:169]
	v_add_f64_e64 v[248:249], v[150:151], -v[170:171]
	s_delay_alu instid0(VALU_DEP_3) | instskip(SKIP_4) | instid1(VALU_DEP_4)
	v_fma_f64 v[172:173], v[84:85], v[88:89], -v[92:93]
	v_mul_f64_e32 v[84:85], v[84:85], v[90:91]
	v_add_f64_e32 v[246:247], v[150:151], v[170:171]
	v_mul_f64_e32 v[135:136], s[20:21], v[250:251]
	v_mul_f64_e32 v[133:134], s[20:21], v[248:249]
	v_fma_f64 v[174:175], v[86:87], v[88:89], v[84:85]
	s_clause 0x1
	global_load_b128 v[92:95], v118, s[4:5] offset:192
	global_load_b128 v[84:87], v118, s[4:5] offset:208
	s_wait_loadcnt_dscnt 0x101
	v_mul_f64_e32 v[128:129], v[110:111], v[94:95]
	s_delay_alu instid0(VALU_DEP_1) | instskip(SKIP_1) | instid1(VALU_DEP_1)
	v_fma_f64 v[176:177], v[108:109], v[92:93], -v[128:129]
	v_mul_f64_e32 v[108:109], v[108:109], v[94:95]
	v_fma_f64 v[108:109], v[110:111], v[92:93], v[108:109]
	s_wait_loadcnt_dscnt 0x0
	v_mul_f64_e32 v[110:111], v[104:105], v[86:87]
	s_delay_alu instid0(VALU_DEP_1) | instskip(SKIP_1) | instid1(VALU_DEP_2)
	v_fma_f64 v[110:111], v[106:107], v[84:85], v[110:111]
	v_mul_f64_e32 v[106:107], v[106:107], v[86:87]
	v_add_f64_e32 v[212:213], v[115:116], v[110:111]
	s_delay_alu instid0(VALU_DEP_2) | instskip(SKIP_1) | instid1(VALU_DEP_2)
	v_fma_f64 v[178:179], v[104:105], v[84:85], -v[106:107]
	v_add_f64_e64 v[104:105], v[115:116], -v[110:111]
	v_add_f64_e32 v[188:189], v[113:114], v[178:179]
	s_delay_alu instid0(VALU_DEP_2)
	v_mul_f64_e32 v[106:107], s[6:7], v[104:105]
	v_mul_f64_e32 v[128:129], s[14:15], v[104:105]
	;; [unrolled: 1-line block ×6, first 2 shown]
	v_fma_f64 v[190:191], v[188:189], s[10:11], -v[106:107]
	v_fma_f64 v[106:107], v[188:189], s[10:11], v[106:107]
	v_fma_f64 v[192:193], v[188:189], s[2:3], -v[128:129]
	v_fma_f64 v[128:129], v[188:189], s[2:3], v[128:129]
	;; [unrolled: 2-line block ×6, first 2 shown]
	v_add_f64_e64 v[104:105], v[113:114], -v[178:179]
	v_add_f64_e32 v[106:107], v[100:101], v[106:107]
	v_add_f64_e32 v[238:239], v[100:101], v[192:193]
	;; [unrolled: 1-line block ×5, first 2 shown]
	v_add_f64_e64 v[200:201], v[142:143], -v[108:109]
	v_mul_f64_e32 v[202:203], s[6:7], v[104:105]
	v_mul_f64_e32 v[204:205], s[14:15], v[104:105]
	;; [unrolled: 1-line block ×6, first 2 shown]
	v_fma_f64 v[214:215], v[212:213], s[10:11], v[202:203]
	v_fma_f64 v[216:217], v[212:213], s[2:3], v[204:205]
	;; [unrolled: 1-line block ×3, first 2 shown]
	v_fma_f64 v[206:207], v[212:213], s[12:13], -v[206:207]
	v_fma_f64 v[202:203], v[212:213], s[10:11], -v[202:203]
	v_fma_f64 v[234:235], v[212:213], s[24:25], v[104:105]
	v_fma_f64 v[240:241], v[212:213], s[24:25], -v[104:105]
	v_add_f64_e32 v[104:105], v[100:101], v[113:114]
	v_fma_f64 v[226:227], v[212:213], s[22:23], v[210:211]
	v_fma_f64 v[232:233], v[212:213], s[22:23], -v[210:211]
	v_add_f64_e32 v[113:114], v[100:101], v[190:191]
	v_add_f64_e32 v[210:211], v[100:101], v[184:185]
	v_fma_f64 v[204:205], v[212:213], s[2:3], -v[204:205]
	v_fma_f64 v[222:223], v[212:213], s[16:17], v[208:209]
	v_fma_f64 v[208:209], v[212:213], s[16:17], -v[208:209]
	v_add_f64_e32 v[190:191], v[142:143], v[108:109]
	v_add_f64_e32 v[236:237], v[102:103], v[216:217]
	;; [unrolled: 1-line block ×8, first 2 shown]
	scratch_store_b64 off, v[104:105], off offset:132 ; 8-byte Folded Spill
	v_add_f64_e32 v[104:105], v[102:103], v[115:116]
	v_add_f64_e32 v[115:116], v[102:103], v[214:215]
	;; [unrolled: 1-line block ×6, first 2 shown]
	v_add_f64_e64 v[232:233], v[146:147], -v[174:175]
	v_add_f64_e32 v[228:229], v[102:103], v[204:205]
	v_add_f64_e32 v[212:213], v[102:103], v[222:223]
	;; [unrolled: 1-line block ×5, first 2 shown]
	v_add_f64_e64 v[234:235], v[144:145], -v[172:173]
	v_add_f64_e32 v[226:227], v[146:147], v[174:175]
	s_clause 0x1
	scratch_store_b64 off, v[118:119], off offset:164
	scratch_store_b64 off, v[104:105], off offset:140
	v_add_f64_e32 v[104:105], v[102:103], v[202:203]
	v_add_f64_e64 v[202:203], v[140:141], -v[176:177]
	scratch_store_b64 off, v[100:101], off offset:148 ; 8-byte Folded Spill
	v_add_f64_e32 v[100:101], v[102:103], v[240:241]
	v_mul_f64_e32 v[240:241], s[14:15], v[200:201]
	v_mul_f64_e32 v[242:243], s[14:15], v[202:203]
	scratch_store_b64 off, v[100:101], off offset:156 ; 8-byte Folded Spill
	v_fma_f64 v[100:101], v[188:189], s[2:3], -v[240:241]
	v_fma_f64 v[102:103], v[190:191], s[2:3], v[242:243]
	s_delay_alu instid0(VALU_DEP_2) | instskip(SKIP_1) | instid1(VALU_DEP_3)
	v_add_f64_e32 v[100:101], v[100:101], v[113:114]
	v_mul_f64_e32 v[113:114], s[18:19], v[232:233]
	v_add_f64_e32 v[102:103], v[102:103], v[115:116]
	s_delay_alu instid0(VALU_DEP_2) | instskip(SKIP_1) | instid1(VALU_DEP_2)
	v_fma_f64 v[115:116], v[222:223], s[12:13], -v[113:114]
	v_fma_f64 v[113:114], v[222:223], s[12:13], v[113:114]
	v_add_f64_e32 v[100:101], v[115:116], v[100:101]
	v_mul_f64_e32 v[115:116], s[18:19], v[234:235]
	s_delay_alu instid0(VALU_DEP_1) | instskip(NEXT) | instid1(VALU_DEP_1)
	v_fma_f64 v[128:129], v[226:227], s[12:13], v[115:116]
	v_add_f64_e32 v[102:103], v[128:129], v[102:103]
	v_fma_f64 v[128:129], v[244:245], s[16:17], -v[133:134]
	s_delay_alu instid0(VALU_DEP_1) | instskip(SKIP_1) | instid1(VALU_DEP_1)
	v_add_f64_e32 v[100:101], v[128:129], v[100:101]
	v_fma_f64 v[128:129], v[246:247], s[16:17], v[135:136]
	v_add_f64_e32 v[102:103], v[128:129], v[102:103]
	v_add_f64_e64 v[128:129], v[154:155], -v[166:167]
	s_delay_alu instid0(VALU_DEP_1) | instskip(NEXT) | instid1(VALU_DEP_1)
	v_mul_f64_e32 v[180:181], s[26:27], v[128:129]
	v_fma_f64 v[130:131], v[252:253], s[22:23], -v[180:181]
	s_delay_alu instid0(VALU_DEP_1) | instskip(SKIP_1) | instid1(VALU_DEP_1)
	v_add_f64_e32 v[100:101], v[130:131], v[100:101]
	v_add_f64_e64 v[130:131], v[152:153], -v[164:165]
	v_mul_f64_e32 v[182:183], s[26:27], v[130:131]
	s_delay_alu instid0(VALU_DEP_1) | instskip(NEXT) | instid1(VALU_DEP_1)
	v_fma_f64 v[184:185], v[254:255], s[22:23], v[182:183]
	v_add_f64_e32 v[102:103], v[184:185], v[102:103]
	v_add_f64_e64 v[184:185], v[158:159], -v[162:163]
	s_delay_alu instid0(VALU_DEP_1) | instskip(NEXT) | instid1(VALU_DEP_1)
	v_mul_f64_e32 v[118:119], s[28:29], v[184:185]
	v_fma_f64 v[186:187], v[137:138], s[24:25], -v[118:119]
	s_delay_alu instid0(VALU_DEP_1) | instskip(SKIP_1) | instid1(VALU_DEP_1)
	v_add_f64_e32 v[100:101], v[186:187], v[100:101]
	v_add_f64_e64 v[186:187], v[156:157], -v[160:161]
	v_mul_f64_e32 v[122:123], s[28:29], v[186:187]
	s_delay_alu instid0(VALU_DEP_1) | instskip(NEXT) | instid1(VALU_DEP_1)
	v_fma_f64 v[192:193], v[120:121], s[24:25], v[122:123]
	v_add_f64_e32 v[102:103], v[192:193], v[102:103]
	v_fma_f64 v[192:193], v[188:189], s[2:3], v[240:241]
	s_delay_alu instid0(VALU_DEP_1) | instskip(SKIP_1) | instid1(VALU_DEP_2)
	v_add_f64_e32 v[106:107], v[192:193], v[106:107]
	v_fma_f64 v[192:193], v[190:191], s[2:3], -v[242:243]
	v_add_f64_e32 v[106:107], v[113:114], v[106:107]
	s_delay_alu instid0(VALU_DEP_2) | instskip(SKIP_3) | instid1(VALU_DEP_3)
	v_add_f64_e32 v[104:105], v[192:193], v[104:105]
	v_fma_f64 v[113:114], v[226:227], s[12:13], -v[115:116]
	v_fma_f64 v[115:116], v[120:121], s[24:25], -v[122:123]
	v_mul_f64_e32 v[122:123], s[20:21], v[202:203]
	v_add_f64_e32 v[104:105], v[113:114], v[104:105]
	v_fma_f64 v[113:114], v[244:245], s[16:17], v[133:134]
	v_mul_f64_e32 v[133:134], s[28:29], v[232:233]
	s_delay_alu instid0(VALU_DEP_2) | instskip(SKIP_1) | instid1(VALU_DEP_3)
	v_add_f64_e32 v[106:107], v[113:114], v[106:107]
	v_fma_f64 v[113:114], v[246:247], s[16:17], -v[135:136]
	v_fma_f64 v[135:136], v[222:223], s[24:25], -v[133:134]
	v_fma_f64 v[133:134], v[222:223], s[24:25], v[133:134]
	s_delay_alu instid0(VALU_DEP_3) | instskip(SKIP_1) | instid1(VALU_DEP_1)
	v_add_f64_e32 v[104:105], v[113:114], v[104:105]
	v_fma_f64 v[113:114], v[252:253], s[22:23], v[180:181]
	v_add_f64_e32 v[106:107], v[113:114], v[106:107]
	v_fma_f64 v[113:114], v[254:255], s[22:23], -v[182:183]
	s_delay_alu instid0(VALU_DEP_1) | instskip(SKIP_2) | instid1(VALU_DEP_2)
	v_add_f64_e32 v[113:114], v[113:114], v[104:105]
	v_fma_f64 v[104:105], v[137:138], s[24:25], v[118:119]
	v_mul_f64_e32 v[118:119], s[20:21], v[200:201]
	v_add_f64_e32 v[104:105], v[104:105], v[106:107]
	s_delay_alu instid0(VALU_DEP_4) | instskip(NEXT) | instid1(VALU_DEP_3)
	v_add_f64_e32 v[106:107], v[115:116], v[113:114]
	v_fma_f64 v[113:114], v[188:189], s[16:17], -v[118:119]
	v_fma_f64 v[115:116], v[190:191], s[16:17], v[122:123]
	v_fma_f64 v[118:119], v[188:189], s[16:17], v[118:119]
	v_fma_f64 v[122:123], v[190:191], s[16:17], -v[122:123]
	s_delay_alu instid0(VALU_DEP_4) | instskip(NEXT) | instid1(VALU_DEP_4)
	v_add_f64_e32 v[113:114], v[113:114], v[238:239]
	v_add_f64_e32 v[115:116], v[115:116], v[236:237]
	s_delay_alu instid0(VALU_DEP_4) | instskip(NEXT) | instid1(VALU_DEP_4)
	v_add_f64_e32 v[118:119], v[118:119], v[230:231]
	v_add_f64_e32 v[122:123], v[122:123], v[228:229]
	s_delay_alu instid0(VALU_DEP_4) | instskip(SKIP_1) | instid1(VALU_DEP_4)
	v_add_f64_e32 v[113:114], v[135:136], v[113:114]
	v_mul_f64_e32 v[135:136], s[28:29], v[234:235]
	v_add_f64_e32 v[118:119], v[133:134], v[118:119]
	s_delay_alu instid0(VALU_DEP_2) | instskip(SKIP_1) | instid1(VALU_DEP_2)
	v_fma_f64 v[180:181], v[226:227], s[24:25], v[135:136]
	v_fma_f64 v[133:134], v[226:227], s[24:25], -v[135:136]
	v_add_f64_e32 v[115:116], v[180:181], v[115:116]
	v_mul_f64_e32 v[180:181], s[30:31], v[248:249]
	s_delay_alu instid0(VALU_DEP_3) | instskip(NEXT) | instid1(VALU_DEP_2)
	v_add_f64_e32 v[122:123], v[133:134], v[122:123]
	v_fma_f64 v[182:183], v[244:245], s[22:23], -v[180:181]
	v_fma_f64 v[133:134], v[244:245], s[22:23], v[180:181]
	v_mul_f64_e32 v[180:181], s[36:37], v[232:233]
	s_delay_alu instid0(VALU_DEP_3) | instskip(SKIP_1) | instid1(VALU_DEP_4)
	v_add_f64_e32 v[113:114], v[182:183], v[113:114]
	v_mul_f64_e32 v[182:183], s[30:31], v[250:251]
	v_add_f64_e32 v[118:119], v[133:134], v[118:119]
	s_delay_alu instid0(VALU_DEP_2) | instskip(SKIP_2) | instid1(VALU_DEP_3)
	v_fma_f64 v[192:193], v[246:247], s[22:23], v[182:183]
	v_fma_f64 v[133:134], v[246:247], s[22:23], -v[182:183]
	v_fma_f64 v[182:183], v[222:223], s[16:17], -v[180:181]
	v_add_f64_e32 v[115:116], v[192:193], v[115:116]
	v_mul_f64_e32 v[192:193], s[34:35], v[128:129]
	s_delay_alu instid0(VALU_DEP_4) | instskip(NEXT) | instid1(VALU_DEP_2)
	v_add_f64_e32 v[122:123], v[133:134], v[122:123]
	v_fma_f64 v[236:237], v[252:253], s[12:13], -v[192:193]
	v_fma_f64 v[133:134], v[252:253], s[12:13], v[192:193]
	s_delay_alu instid0(VALU_DEP_2) | instskip(SKIP_1) | instid1(VALU_DEP_3)
	v_add_f64_e32 v[113:114], v[236:237], v[113:114]
	v_mul_f64_e32 v[236:237], s[34:35], v[130:131]
	v_add_f64_e32 v[118:119], v[133:134], v[118:119]
	s_delay_alu instid0(VALU_DEP_2) | instskip(SKIP_1) | instid1(VALU_DEP_2)
	v_fma_f64 v[238:239], v[254:255], s[12:13], v[236:237]
	v_fma_f64 v[133:134], v[254:255], s[12:13], -v[236:237]
	v_add_f64_e32 v[115:116], v[238:239], v[115:116]
	v_mul_f64_e32 v[238:239], s[38:39], v[184:185]
	s_delay_alu instid0(VALU_DEP_3) | instskip(NEXT) | instid1(VALU_DEP_2)
	v_add_f64_e32 v[122:123], v[133:134], v[122:123]
	v_fma_f64 v[240:241], v[137:138], s[10:11], -v[238:239]
	v_fma_f64 v[133:134], v[137:138], s[10:11], v[238:239]
	s_delay_alu instid0(VALU_DEP_2) | instskip(SKIP_1) | instid1(VALU_DEP_3)
	v_add_f64_e32 v[113:114], v[240:241], v[113:114]
	v_mul_f64_e32 v[240:241], s[38:39], v[186:187]
	v_add_f64_e32 v[228:229], v[133:134], v[118:119]
	v_mul_f64_e32 v[118:119], s[28:29], v[200:201]
	v_mul_f64_e32 v[133:134], s[28:29], v[202:203]
	s_delay_alu instid0(VALU_DEP_4) | instskip(SKIP_2) | instid1(VALU_DEP_3)
	v_fma_f64 v[135:136], v[120:121], s[10:11], -v[240:241]
	v_fma_f64 v[242:243], v[120:121], s[10:11], v[240:241]
	v_mul_f64_e32 v[240:241], s[14:15], v[130:131]
	v_add_f64_e32 v[230:231], v[135:136], v[122:123]
	v_fma_f64 v[122:123], v[188:189], s[24:25], -v[118:119]
	v_fma_f64 v[135:136], v[190:191], s[24:25], v[133:134]
	v_add_f64_e32 v[115:116], v[242:243], v[115:116]
	v_mul_f64_e32 v[242:243], s[26:27], v[184:185]
	v_fma_f64 v[118:119], v[188:189], s[24:25], v[118:119]
	v_fma_f64 v[133:134], v[190:191], s[24:25], -v[133:134]
	v_add_f64_e32 v[122:123], v[122:123], v[224:225]
	v_add_f64_e32 v[135:136], v[135:136], v[220:221]
	s_delay_alu instid0(VALU_DEP_4) | instskip(NEXT) | instid1(VALU_DEP_4)
	v_add_f64_e32 v[118:119], v[118:119], v[218:219]
	v_add_f64_e32 v[133:134], v[133:134], v[216:217]
	s_delay_alu instid0(VALU_DEP_4) | instskip(SKIP_1) | instid1(VALU_DEP_1)
	v_add_f64_e32 v[122:123], v[182:183], v[122:123]
	v_mul_f64_e32 v[182:183], s[36:37], v[234:235]
	v_fma_f64 v[192:193], v[226:227], s[16:17], v[182:183]
	s_delay_alu instid0(VALU_DEP_1) | instskip(SKIP_1) | instid1(VALU_DEP_1)
	v_add_f64_e32 v[135:136], v[192:193], v[135:136]
	v_mul_f64_e32 v[192:193], s[38:39], v[248:249]
	v_fma_f64 v[220:221], v[244:245], s[10:11], -v[192:193]
	s_delay_alu instid0(VALU_DEP_1) | instskip(SKIP_1) | instid1(VALU_DEP_1)
	v_add_f64_e32 v[122:123], v[220:221], v[122:123]
	v_mul_f64_e32 v[220:221], s[38:39], v[250:251]
	v_fma_f64 v[224:225], v[246:247], s[10:11], v[220:221]
	s_delay_alu instid0(VALU_DEP_1) | instskip(SKIP_1) | instid1(VALU_DEP_1)
	v_add_f64_e32 v[135:136], v[224:225], v[135:136]
	v_mul_f64_e32 v[224:225], s[14:15], v[128:129]
	v_fma_f64 v[236:237], v[252:253], s[2:3], -v[224:225]
	s_delay_alu instid0(VALU_DEP_1) | instskip(SKIP_1) | instid1(VALU_DEP_1)
	v_add_f64_e32 v[122:123], v[236:237], v[122:123]
	v_fma_f64 v[236:237], v[254:255], s[2:3], v[240:241]
	v_add_f64_e32 v[135:136], v[236:237], v[135:136]
	v_fma_f64 v[236:237], v[137:138], s[22:23], -v[242:243]
	s_delay_alu instid0(VALU_DEP_1) | instskip(SKIP_1) | instid1(VALU_DEP_1)
	v_add_f64_e32 v[236:237], v[236:237], v[122:123]
	v_mul_f64_e32 v[122:123], s[26:27], v[186:187]
	v_fma_f64 v[238:239], v[120:121], s[22:23], v[122:123]
	v_fma_f64 v[122:123], v[120:121], s[22:23], -v[122:123]
	s_delay_alu instid0(VALU_DEP_2) | instskip(SKIP_2) | instid1(VALU_DEP_2)
	v_add_f64_e32 v[238:239], v[238:239], v[135:136]
	v_fma_f64 v[135:136], v[222:223], s[16:17], v[180:181]
	v_mul_f64_e32 v[180:181], s[38:39], v[232:233]
	v_add_f64_e32 v[118:119], v[135:136], v[118:119]
	v_fma_f64 v[135:136], v[226:227], s[16:17], -v[182:183]
	s_delay_alu instid0(VALU_DEP_3) | instskip(NEXT) | instid1(VALU_DEP_2)
	v_fma_f64 v[182:183], v[222:223], s[10:11], -v[180:181]
	v_add_f64_e32 v[133:134], v[135:136], v[133:134]
	v_fma_f64 v[135:136], v[244:245], s[10:11], v[192:193]
	s_delay_alu instid0(VALU_DEP_1) | instskip(SKIP_2) | instid1(VALU_DEP_2)
	v_add_f64_e32 v[118:119], v[135:136], v[118:119]
	v_fma_f64 v[135:136], v[246:247], s[10:11], -v[220:221]
	v_mul_f64_e32 v[220:221], s[18:19], v[250:251]
	v_add_f64_e32 v[133:134], v[135:136], v[133:134]
	v_fma_f64 v[135:136], v[252:253], s[2:3], v[224:225]
	v_mul_f64_e32 v[224:225], s[40:41], v[128:129]
	s_delay_alu instid0(VALU_DEP_2) | instskip(SKIP_2) | instid1(VALU_DEP_2)
	v_add_f64_e32 v[118:119], v[135:136], v[118:119]
	v_fma_f64 v[135:136], v[254:255], s[2:3], -v[240:241]
	v_mul_f64_e32 v[240:241], s[40:41], v[130:131]
	v_add_f64_e32 v[133:134], v[135:136], v[133:134]
	v_fma_f64 v[135:136], v[137:138], s[22:23], v[242:243]
	v_mul_f64_e32 v[242:243], s[42:43], v[184:185]
	s_delay_alu instid0(VALU_DEP_3) | instskip(NEXT) | instid1(VALU_DEP_3)
	v_add_f64_e32 v[218:219], v[122:123], v[133:134]
	v_add_f64_e32 v[216:217], v[135:136], v[118:119]
	v_mul_f64_e32 v[118:119], s[30:31], v[200:201]
	v_mul_f64_e32 v[133:134], s[30:31], v[202:203]
	s_delay_alu instid0(VALU_DEP_2) | instskip(NEXT) | instid1(VALU_DEP_2)
	v_fma_f64 v[122:123], v[188:189], s[22:23], -v[118:119]
	v_fma_f64 v[135:136], v[190:191], s[22:23], v[133:134]
	v_fma_f64 v[118:119], v[188:189], s[22:23], v[118:119]
	v_fma_f64 v[133:134], v[190:191], s[22:23], -v[133:134]
	s_delay_alu instid0(VALU_DEP_4) | instskip(NEXT) | instid1(VALU_DEP_4)
	v_add_f64_e32 v[122:123], v[122:123], v[214:215]
	v_add_f64_e32 v[135:136], v[135:136], v[212:213]
	s_delay_alu instid0(VALU_DEP_4) | instskip(NEXT) | instid1(VALU_DEP_4)
	v_add_f64_e32 v[118:119], v[118:119], v[210:211]
	v_add_f64_e32 v[133:134], v[133:134], v[208:209]
	s_delay_alu instid0(VALU_DEP_4) | instskip(SKIP_1) | instid1(VALU_DEP_1)
	v_add_f64_e32 v[122:123], v[182:183], v[122:123]
	v_mul_f64_e32 v[182:183], s[38:39], v[234:235]
	v_fma_f64 v[192:193], v[226:227], s[10:11], v[182:183]
	s_delay_alu instid0(VALU_DEP_1) | instskip(SKIP_1) | instid1(VALU_DEP_1)
	v_add_f64_e32 v[135:136], v[192:193], v[135:136]
	v_mul_f64_e32 v[192:193], s[18:19], v[248:249]
	v_fma_f64 v[212:213], v[244:245], s[12:13], -v[192:193]
	s_delay_alu instid0(VALU_DEP_1) | instskip(SKIP_1) | instid1(VALU_DEP_1)
	v_add_f64_e32 v[122:123], v[212:213], v[122:123]
	v_fma_f64 v[212:213], v[246:247], s[12:13], v[220:221]
	v_add_f64_e32 v[135:136], v[212:213], v[135:136]
	v_fma_f64 v[212:213], v[252:253], s[24:25], -v[224:225]
	s_delay_alu instid0(VALU_DEP_1) | instskip(SKIP_1) | instid1(VALU_DEP_1)
	v_add_f64_e32 v[122:123], v[212:213], v[122:123]
	v_fma_f64 v[212:213], v[254:255], s[24:25], v[240:241]
	v_add_f64_e32 v[135:136], v[212:213], v[135:136]
	v_fma_f64 v[212:213], v[137:138], s[2:3], -v[242:243]
	s_delay_alu instid0(VALU_DEP_1) | instskip(SKIP_1) | instid1(VALU_DEP_1)
	v_add_f64_e32 v[212:213], v[212:213], v[122:123]
	v_mul_f64_e32 v[122:123], s[42:43], v[186:187]
	v_fma_f64 v[214:215], v[120:121], s[2:3], v[122:123]
	v_fma_f64 v[122:123], v[120:121], s[2:3], -v[122:123]
	s_delay_alu instid0(VALU_DEP_2) | instskip(SKIP_2) | instid1(VALU_DEP_2)
	v_add_f64_e32 v[214:215], v[214:215], v[135:136]
	v_fma_f64 v[135:136], v[222:223], s[10:11], v[180:181]
	v_mul_f64_e32 v[180:181], s[14:15], v[232:233]
	v_add_f64_e32 v[118:119], v[135:136], v[118:119]
	v_fma_f64 v[135:136], v[226:227], s[10:11], -v[182:183]
	s_delay_alu instid0(VALU_DEP_3) | instskip(NEXT) | instid1(VALU_DEP_2)
	v_fma_f64 v[182:183], v[222:223], s[2:3], -v[180:181]
	v_add_f64_e32 v[133:134], v[135:136], v[133:134]
	v_fma_f64 v[135:136], v[244:245], s[12:13], v[192:193]
	s_delay_alu instid0(VALU_DEP_1) | instskip(SKIP_2) | instid1(VALU_DEP_2)
	v_add_f64_e32 v[118:119], v[135:136], v[118:119]
	v_fma_f64 v[135:136], v[246:247], s[12:13], -v[220:221]
	v_mul_f64_e32 v[220:221], s[40:41], v[250:251]
	v_add_f64_e32 v[133:134], v[135:136], v[133:134]
	v_fma_f64 v[135:136], v[252:253], s[24:25], v[224:225]
	v_mul_f64_e32 v[224:225], s[38:39], v[128:129]
	s_delay_alu instid0(VALU_DEP_2) | instskip(SKIP_2) | instid1(VALU_DEP_2)
	v_add_f64_e32 v[118:119], v[135:136], v[118:119]
	v_fma_f64 v[135:136], v[254:255], s[24:25], -v[240:241]
	v_mul_f64_e32 v[240:241], s[38:39], v[130:131]
	v_add_f64_e32 v[133:134], v[135:136], v[133:134]
	v_fma_f64 v[135:136], v[137:138], s[2:3], v[242:243]
	v_mul_f64_e32 v[242:243], s[20:21], v[184:185]
	s_delay_alu instid0(VALU_DEP_3) | instskip(NEXT) | instid1(VALU_DEP_3)
	v_add_f64_e32 v[210:211], v[122:123], v[133:134]
	v_add_f64_e32 v[208:209], v[135:136], v[118:119]
	v_mul_f64_e32 v[118:119], s[34:35], v[200:201]
	v_mul_f64_e32 v[133:134], s[34:35], v[202:203]
	s_delay_alu instid0(VALU_DEP_2) | instskip(NEXT) | instid1(VALU_DEP_2)
	v_fma_f64 v[122:123], v[188:189], s[12:13], -v[118:119]
	v_fma_f64 v[135:136], v[190:191], s[12:13], v[133:134]
	v_fma_f64 v[118:119], v[188:189], s[12:13], v[118:119]
	v_fma_f64 v[133:134], v[190:191], s[12:13], -v[133:134]
	s_delay_alu instid0(VALU_DEP_4) | instskip(NEXT) | instid1(VALU_DEP_4)
	v_add_f64_e32 v[122:123], v[122:123], v[206:207]
	v_add_f64_e32 v[135:136], v[135:136], v[204:205]
	s_delay_alu instid0(VALU_DEP_4) | instskip(NEXT) | instid1(VALU_DEP_4)
	v_add_f64_e32 v[118:119], v[118:119], v[198:199]
	v_add_f64_e32 v[133:134], v[133:134], v[196:197]
	s_delay_alu instid0(VALU_DEP_4) | instskip(SKIP_1) | instid1(VALU_DEP_1)
	v_add_f64_e32 v[122:123], v[182:183], v[122:123]
	v_mul_f64_e32 v[182:183], s[14:15], v[234:235]
	v_fma_f64 v[192:193], v[226:227], s[2:3], v[182:183]
	s_delay_alu instid0(VALU_DEP_1) | instskip(SKIP_1) | instid1(VALU_DEP_1)
	v_add_f64_e32 v[135:136], v[192:193], v[135:136]
	v_mul_f64_e32 v[192:193], s[40:41], v[248:249]
	v_fma_f64 v[204:205], v[244:245], s[24:25], -v[192:193]
	s_delay_alu instid0(VALU_DEP_1) | instskip(SKIP_1) | instid1(VALU_DEP_1)
	v_add_f64_e32 v[122:123], v[204:205], v[122:123]
	v_fma_f64 v[204:205], v[246:247], s[24:25], v[220:221]
	v_add_f64_e32 v[135:136], v[204:205], v[135:136]
	v_fma_f64 v[204:205], v[252:253], s[10:11], -v[224:225]
	s_delay_alu instid0(VALU_DEP_1) | instskip(SKIP_1) | instid1(VALU_DEP_1)
	v_add_f64_e32 v[122:123], v[204:205], v[122:123]
	v_fma_f64 v[204:205], v[254:255], s[10:11], v[240:241]
	v_add_f64_e32 v[135:136], v[204:205], v[135:136]
	v_fma_f64 v[204:205], v[137:138], s[16:17], -v[242:243]
	s_delay_alu instid0(VALU_DEP_1) | instskip(SKIP_1) | instid1(VALU_DEP_1)
	v_add_f64_e32 v[204:205], v[204:205], v[122:123]
	v_mul_f64_e32 v[122:123], s[20:21], v[186:187]
	v_fma_f64 v[206:207], v[120:121], s[16:17], v[122:123]
	v_fma_f64 v[122:123], v[120:121], s[16:17], -v[122:123]
	s_delay_alu instid0(VALU_DEP_2) | instskip(SKIP_4) | instid1(VALU_DEP_1)
	v_add_f64_e32 v[206:207], v[206:207], v[135:136]
	v_fma_f64 v[135:136], v[222:223], s[2:3], v[180:181]
	scratch_load_b64 v[180:181], off, off offset:164 th:TH_LOAD_LU ; 8-byte Folded Reload
	v_add_f64_e32 v[118:119], v[135:136], v[118:119]
	v_fma_f64 v[135:136], v[226:227], s[2:3], -v[182:183]
	v_add_f64_e32 v[133:134], v[135:136], v[133:134]
	v_fma_f64 v[135:136], v[244:245], s[24:25], v[192:193]
	s_delay_alu instid0(VALU_DEP_1) | instskip(SKIP_1) | instid1(VALU_DEP_1)
	v_add_f64_e32 v[118:119], v[135:136], v[118:119]
	v_fma_f64 v[135:136], v[246:247], s[24:25], -v[220:221]
	v_add_f64_e32 v[133:134], v[135:136], v[133:134]
	v_fma_f64 v[135:136], v[252:253], s[10:11], v[224:225]
	s_delay_alu instid0(VALU_DEP_1) | instskip(SKIP_1) | instid1(VALU_DEP_1)
	v_add_f64_e32 v[118:119], v[135:136], v[118:119]
	v_fma_f64 v[135:136], v[254:255], s[10:11], -v[240:241]
	v_add_f64_e32 v[133:134], v[135:136], v[133:134]
	v_fma_f64 v[135:136], v[137:138], s[16:17], v[242:243]
	s_delay_alu instid0(VALU_DEP_2) | instskip(SKIP_1) | instid1(VALU_DEP_3)
	v_add_f64_e32 v[198:199], v[122:123], v[133:134]
	v_mul_f64_e32 v[133:134], s[38:39], v[202:203]
	v_add_f64_e32 v[196:197], v[135:136], v[118:119]
	v_mul_f64_e32 v[118:119], s[38:39], v[200:201]
	v_mul_f64_e32 v[202:203], s[20:21], v[130:131]
	s_delay_alu instid0(VALU_DEP_4) | instskip(NEXT) | instid1(VALU_DEP_3)
	v_fma_f64 v[135:136], v[190:191], s[10:11], v[133:134]
	v_fma_f64 v[122:123], v[188:189], s[10:11], -v[118:119]
	v_fma_f64 v[118:119], v[188:189], s[10:11], v[118:119]
	s_wait_loadcnt 0x0
	s_delay_alu instid0(VALU_DEP_3) | instskip(SKIP_1) | instid1(VALU_DEP_4)
	v_add_f64_e32 v[135:136], v[135:136], v[180:181]
	v_mul_f64_e32 v[180:181], s[26:27], v[232:233]
	v_add_f64_e32 v[122:123], v[122:123], v[194:195]
	s_delay_alu instid0(VALU_DEP_2) | instskip(NEXT) | instid1(VALU_DEP_1)
	v_fma_f64 v[182:183], v[222:223], s[22:23], -v[180:181]
	v_add_f64_e32 v[122:123], v[182:183], v[122:123]
	v_mul_f64_e32 v[182:183], s[26:27], v[234:235]
	s_delay_alu instid0(VALU_DEP_1) | instskip(NEXT) | instid1(VALU_DEP_1)
	v_fma_f64 v[192:193], v[226:227], s[22:23], v[182:183]
	v_add_f64_e32 v[135:136], v[192:193], v[135:136]
	v_mul_f64_e32 v[192:193], s[42:43], v[248:249]
	s_delay_alu instid0(VALU_DEP_1) | instskip(NEXT) | instid1(VALU_DEP_1)
	v_fma_f64 v[194:195], v[244:245], s[2:3], -v[192:193]
	v_add_f64_e32 v[122:123], v[194:195], v[122:123]
	v_mul_f64_e32 v[194:195], s[42:43], v[250:251]
	s_delay_alu instid0(VALU_DEP_1) | instskip(NEXT) | instid1(VALU_DEP_1)
	v_fma_f64 v[200:201], v[246:247], s[2:3], v[194:195]
	v_add_f64_e32 v[135:136], v[200:201], v[135:136]
	v_mul_f64_e32 v[200:201], s[20:21], v[128:129]
	s_delay_alu instid0(VALU_DEP_1) | instskip(NEXT) | instid1(VALU_DEP_1)
	v_fma_f64 v[128:129], v[252:253], s[16:17], -v[200:201]
	v_add_f64_e32 v[122:123], v[128:129], v[122:123]
	v_fma_f64 v[128:129], v[254:255], s[16:17], v[202:203]
	s_delay_alu instid0(VALU_DEP_1) | instskip(SKIP_3) | instid1(VALU_DEP_3)
	v_add_f64_e32 v[130:131], v[128:129], v[135:136]
	v_mul_f64_e32 v[135:136], s[34:35], v[184:185]
	v_mul_f64_e32 v[184:185], s[34:35], v[186:187]
	v_fma_f64 v[186:187], v[246:247], s[2:3], -v[194:195]
	v_fma_f64 v[128:129], v[137:138], s[12:13], -v[135:136]
	v_fma_f64 v[135:136], v[137:138], s[12:13], v[135:136]
	s_delay_alu instid0(VALU_DEP_2) | instskip(SKIP_2) | instid1(VALU_DEP_2)
	v_add_f64_e32 v[128:129], v[128:129], v[122:123]
	v_fma_f64 v[122:123], v[120:121], s[12:13], v[184:185]
	v_fma_f64 v[120:121], v[120:121], s[12:13], -v[184:185]
	v_add_f64_e32 v[130:131], v[122:123], v[130:131]
	v_fma_f64 v[122:123], v[190:191], s[10:11], -v[133:134]
	v_fma_f64 v[133:134], v[222:223], s[22:23], v[180:181]
	v_fma_f64 v[180:181], v[226:227], s[22:23], -v[182:183]
	scratch_load_b64 v[182:183], off, off offset:148 th:TH_LOAD_LU ; 8-byte Folded Reload
	s_wait_loadcnt 0x0
	v_add_f64_e32 v[118:119], v[118:119], v[182:183]
	scratch_load_b64 v[182:183], off, off offset:156 th:TH_LOAD_LU ; 8-byte Folded Reload
	v_add_f64_e32 v[118:119], v[133:134], v[118:119]
	v_fma_f64 v[133:134], v[252:253], s[16:17], v[200:201]
	s_wait_loadcnt 0x0
	v_add_f64_e32 v[122:123], v[122:123], v[182:183]
	v_fma_f64 v[182:183], v[244:245], s[2:3], v[192:193]
	s_delay_alu instid0(VALU_DEP_2) | instskip(SKIP_1) | instid1(VALU_DEP_3)
	v_add_f64_e32 v[122:123], v[180:181], v[122:123]
	v_fma_f64 v[180:181], v[254:255], s[16:17], -v[202:203]
	v_add_f64_e32 v[118:119], v[182:183], v[118:119]
	s_delay_alu instid0(VALU_DEP_3) | instskip(NEXT) | instid1(VALU_DEP_2)
	v_add_f64_e32 v[122:123], v[186:187], v[122:123]
	v_add_f64_e32 v[118:119], v[133:134], v[118:119]
	s_delay_alu instid0(VALU_DEP_2) | instskip(NEXT) | instid1(VALU_DEP_2)
	v_add_f64_e32 v[122:123], v[180:181], v[122:123]
	v_add_f64_e32 v[184:185], v[135:136], v[118:119]
	scratch_load_b64 v[118:119], off, off offset:132 th:TH_LOAD_LU ; 8-byte Folded Reload
	v_add_f64_e32 v[186:187], v[120:121], v[122:123]
	scratch_load_b64 v[120:121], off, off offset:140 th:TH_LOAD_LU ; 8-byte Folded Reload
	global_wb scope:SCOPE_SE
	s_wait_loadcnt 0x0
	s_wait_storecnt 0x0
	s_barrier_signal -1
	s_barrier_wait -1
	global_inv scope:SCOPE_SE
	v_add_f64_e32 v[118:119], v[118:119], v[140:141]
	v_add_f64_e32 v[120:121], v[120:121], v[142:143]
	s_delay_alu instid0(VALU_DEP_2) | instskip(NEXT) | instid1(VALU_DEP_2)
	v_add_f64_e32 v[118:119], v[118:119], v[144:145]
	v_add_f64_e32 v[120:121], v[120:121], v[146:147]
	s_delay_alu instid0(VALU_DEP_2) | instskip(NEXT) | instid1(VALU_DEP_2)
	;; [unrolled: 3-line block ×9, first 2 shown]
	v_add_f64_e32 v[118:119], v[118:119], v[176:177]
	v_add_f64_e32 v[120:121], v[120:121], v[108:109]
	s_delay_alu instid0(VALU_DEP_2) | instskip(SKIP_1) | instid1(VALU_DEP_1)
	v_add_f64_e32 v[108:109], v[118:119], v[178:179]
	v_lshrrev_b32_e32 v118, 2, v112
	v_mul_u32_u24_e32 v118, 52, v118
	s_delay_alu instid0(VALU_DEP_1) | instskip(NEXT) | instid1(VALU_DEP_1)
	v_or_b32_e32 v118, v118, v139
	v_lshl_add_u32 v118, v118, 4, 0
	v_add_f64_e32 v[110:111], v[120:121], v[110:111]
	ds_store_b128 v118, v[113:116] offset:128
	ds_store_b128 v118, v[236:239] offset:192
	;; [unrolled: 1-line block ×12, first 2 shown]
	ds_store_b128 v118, v[108:111]
	scratch_load_b32 v100, off, off offset:116 th:TH_LOAD_LU ; 4-byte Folded Reload
	s_wait_loadcnt 0x0
	v_sub_nc_u32_e32 v104, 0, v100
	scratch_load_b32 v100, off, off offset:120 th:TH_LOAD_LU ; 4-byte Folded Reload
	s_wait_loadcnt 0x0
	v_sub_nc_u32_e32 v102, 0, v100
	;; [unrolled: 3-line block ×4, first 2 shown]
	s_and_saveexec_b32 s33, s1
	s_cbranch_execz .LBB0_23
; %bb.22:
	v_mul_f64_e32 v[100:101], v[20:21], v[82:83]
	s_delay_alu instid0(VALU_DEP_1) | instskip(SKIP_1) | instid1(VALU_DEP_1)
	v_fma_f64 v[100:101], v[22:23], v[80:81], v[100:101]
	v_mul_f64_e32 v[22:23], v[22:23], v[82:83]
	v_fma_f64 v[80:81], v[20:21], v[80:81], -v[22:23]
	v_mul_f64_e32 v[22:23], v[46:47], v[98:99]
	v_mul_f64_e32 v[20:21], v[44:45], v[98:99]
	s_delay_alu instid0(VALU_DEP_2) | instskip(SKIP_1) | instid1(VALU_DEP_3)
	v_fma_f64 v[22:23], v[44:45], v[96:97], -v[22:23]
	v_mul_f64_e32 v[44:45], v[32:33], v[78:79]
	v_fma_f64 v[20:21], v[46:47], v[96:97], v[20:21]
	s_delay_alu instid0(VALU_DEP_3) | instskip(NEXT) | instid1(VALU_DEP_3)
	v_add_f64_e64 v[140:141], v[80:81], -v[22:23]
	v_fma_f64 v[44:45], v[34:35], v[76:77], v[44:45]
	v_mul_f64_e32 v[34:35], v[34:35], v[78:79]
	s_delay_alu instid0(VALU_DEP_4) | instskip(SKIP_2) | instid1(VALU_DEP_4)
	v_add_f64_e32 v[137:138], v[100:101], v[20:21]
	v_add_f64_e64 v[142:143], v[100:101], -v[20:21]
	v_add_f64_e32 v[144:145], v[80:81], v[22:23]
	v_fma_f64 v[46:47], v[32:33], v[76:77], -v[34:35]
	v_mul_f64_e32 v[34:35], v[50:51], v[90:91]
	v_mul_f64_e32 v[32:33], v[48:49], v[90:91]
	;; [unrolled: 1-line block ×6, first 2 shown]
	v_fma_f64 v[34:35], v[48:49], v[88:89], -v[34:35]
	v_mul_f64_e32 v[48:49], v[12:13], v[74:75]
	v_fma_f64 v[32:33], v[50:51], v[88:89], v[32:33]
	s_delay_alu instid0(VALU_DEP_3) | instskip(NEXT) | instid1(VALU_DEP_3)
	v_add_f64_e64 v[130:131], v[46:47], -v[34:35]
	v_fma_f64 v[48:49], v[14:15], v[72:73], v[48:49]
	v_mul_f64_e32 v[14:15], v[14:15], v[74:75]
	s_delay_alu instid0(VALU_DEP_4) | instskip(SKIP_2) | instid1(VALU_DEP_4)
	v_add_f64_e32 v[128:129], v[44:45], v[32:33]
	v_add_f64_e64 v[133:134], v[44:45], -v[32:33]
	v_add_f64_e32 v[135:136], v[46:47], v[34:35]
	v_fma_f64 v[50:51], v[12:13], v[72:73], -v[14:15]
	v_mul_f64_e32 v[14:15], v[54:55], v[94:95]
	v_mul_f64_e32 v[12:13], v[52:53], v[94:95]
	;; [unrolled: 1-line block ×6, first 2 shown]
	v_fma_f64 v[14:15], v[52:53], v[92:93], -v[14:15]
	v_mul_f64_e32 v[52:53], v[24:25], v[70:71]
	v_fma_f64 v[12:13], v[54:55], v[92:93], v[12:13]
	s_delay_alu instid0(VALU_DEP_3) | instskip(NEXT) | instid1(VALU_DEP_3)
	v_add_f64_e32 v[122:123], v[50:51], v[14:15]
	v_fma_f64 v[54:55], v[26:27], v[68:69], v[52:53]
	v_mul_f64_e32 v[52:53], v[16:17], v[62:63]
	v_mul_f64_e32 v[26:27], v[26:27], v[70:71]
	v_add_f64_e32 v[118:119], v[48:49], v[12:13]
	v_add_f64_e64 v[120:121], v[48:49], -v[12:13]
	s_delay_alu instid0(VALU_DEP_4)
	v_fma_f64 v[52:53], v[18:19], v[60:61], v[52:53]
	v_mul_f64_e32 v[18:19], v[18:19], v[62:63]
	v_fma_f64 v[68:69], v[24:25], v[68:69], -v[26:27]
	v_mul_f64_e32 v[24:25], v[56:57], v[86:87]
	v_mul_f64_e32 v[26:27], v[58:59], v[86:87]
	;; [unrolled: 1-line block ×5, first 2 shown]
	v_fma_f64 v[16:17], v[16:17], v[60:61], -v[18:19]
	v_mul_f64_e32 v[18:19], v[28:29], v[66:67]
	v_fma_f64 v[24:25], v[58:59], v[84:85], v[24:25]
	v_fma_f64 v[26:27], v[56:57], v[84:85], -v[26:27]
	s_delay_alu instid0(VALU_DEP_3) | instskip(SKIP_1) | instid1(VALU_DEP_3)
	v_fma_f64 v[18:19], v[30:31], v[64:65], v[18:19]
	v_mul_f64_e32 v[30:31], v[30:31], v[66:67]
	v_add_f64_e64 v[58:59], v[68:69], -v[26:27]
	v_add_f64_e32 v[86:87], v[68:69], v[26:27]
	s_delay_alu instid0(VALU_DEP_4) | instskip(NEXT) | instid1(VALU_DEP_4)
	v_add_f64_e32 v[158:159], v[52:53], v[18:19]
	v_fma_f64 v[28:29], v[28:29], v[64:65], -v[30:31]
	v_mul_f64_e32 v[30:31], v[8:9], v[38:39]
	v_add_f64_e64 v[164:165], v[52:53], -v[18:19]
	s_delay_alu instid0(VALU_DEP_4) | instskip(NEXT) | instid1(VALU_DEP_4)
	v_mul_f64_e32 v[162:163], s[12:13], v[158:159]
	v_add_f64_e64 v[160:161], v[16:17], -v[28:29]
	s_delay_alu instid0(VALU_DEP_4)
	v_fma_f64 v[30:31], v[10:11], v[36:37], v[30:31]
	v_mul_f64_e32 v[10:11], v[10:11], v[38:39]
	v_add_f64_e32 v[166:167], v[16:17], v[28:29]
	v_mul_f64_e32 v[168:169], s[34:35], v[164:165]
	v_mul_f64_e32 v[170:171], s[42:43], v[164:165]
	;; [unrolled: 1-line block ×5, first 2 shown]
	v_fma_f64 v[10:11], v[8:9], v[36:37], -v[10:11]
	v_mul_f64_e32 v[8:9], v[4:5], v[42:43]
	s_delay_alu instid0(VALU_DEP_1) | instskip(SKIP_1) | instid1(VALU_DEP_2)
	v_fma_f64 v[8:9], v[6:7], v[40:41], v[8:9]
	v_mul_f64_e32 v[6:7], v[6:7], v[42:43]
	v_add_f64_e32 v[146:147], v[30:31], v[8:9]
	s_delay_alu instid0(VALU_DEP_2) | instskip(SKIP_1) | instid1(VALU_DEP_3)
	v_fma_f64 v[4:5], v[4:5], v[40:41], -v[6:7]
	v_add_f64_e32 v[6:7], v[54:55], v[24:25]
	v_mul_f64_e32 v[182:183], s[12:13], v[146:147]
	s_delay_alu instid0(VALU_DEP_3) | instskip(NEXT) | instid1(VALU_DEP_3)
	v_add_f64_e64 v[148:149], v[10:11], -v[4:5]
	v_mul_f64_e32 v[36:37], s[24:25], v[6:7]
	v_mul_f64_e32 v[38:39], s[22:23], v[6:7]
	;; [unrolled: 1-line block ×6, first 2 shown]
	v_add_f64_e32 v[152:153], v[10:11], v[4:5]
	v_mul_f64_e32 v[202:203], s[2:3], v[146:147]
	v_fma_f64 v[60:61], v[58:59], s[40:41], v[36:37]
	v_fma_f64 v[62:63], v[58:59], s[28:29], v[36:37]
	;; [unrolled: 1-line block ×12, first 2 shown]
	v_add_f64_e64 v[6:7], v[54:55], -v[24:25]
	v_add_f64_e32 v[62:63], v[2:3], v[62:63]
	v_add_f64_e32 v[64:65], v[2:3], v[64:65]
	;; [unrolled: 1-line block ×7, first 2 shown]
	v_mul_f64_e32 v[36:37], s[28:29], v[6:7]
	v_mul_f64_e32 v[76:77], s[26:27], v[6:7]
	;; [unrolled: 1-line block ×6, first 2 shown]
	v_fma_f64 v[88:89], v[86:87], s[24:25], v[36:37]
	v_fma_f64 v[90:91], v[86:87], s[24:25], -v[36:37]
	v_fma_f64 v[92:93], v[86:87], s[22:23], v[76:77]
	v_fma_f64 v[76:77], v[86:87], s[22:23], -v[76:77]
	;; [unrolled: 2-line block ×6, first 2 shown]
	v_add_f64_e32 v[6:7], v[2:3], v[54:55]
	v_add_f64_e32 v[36:37], v[0:1], v[68:69]
	;; [unrolled: 1-line block ×19, first 2 shown]
	v_add_f64_e64 v[0:1], v[50:51], -v[14:15]
	v_mul_f64_e32 v[58:59], s[10:11], v[118:119]
	v_mul_f64_e32 v[66:67], s[38:39], v[120:121]
	s_delay_alu instid0(VALU_DEP_2) | instskip(SKIP_1) | instid1(VALU_DEP_2)
	v_fma_f64 v[56:57], v[0:1], s[6:7], v[58:59]
	v_fma_f64 v[58:59], v[0:1], s[38:39], v[58:59]
	v_add_f64_e32 v[54:55], v[56:57], v[54:55]
	s_delay_alu instid0(VALU_DEP_4) | instskip(NEXT) | instid1(VALU_DEP_3)
	v_fma_f64 v[56:57], v[122:123], s[10:11], v[66:67]
	v_add_f64_e32 v[58:59], v[58:59], v[62:63]
	v_fma_f64 v[62:63], v[122:123], s[10:11], -v[66:67]
	v_fma_f64 v[66:67], v[166:167], s[12:13], -v[168:169]
	s_delay_alu instid0(VALU_DEP_4) | instskip(SKIP_1) | instid1(VALU_DEP_4)
	v_add_f64_e32 v[56:57], v[56:57], v[60:61]
	v_mul_f64_e32 v[60:61], s[22:23], v[128:129]
	v_add_f64_e32 v[62:63], v[62:63], v[68:69]
	v_mul_f64_e32 v[68:69], s[34:35], v[120:121]
	s_delay_alu instid0(VALU_DEP_3) | instskip(SKIP_1) | instid1(VALU_DEP_2)
	v_fma_f64 v[70:71], v[130:131], s[30:31], v[60:61]
	v_fma_f64 v[60:61], v[130:131], s[26:27], v[60:61]
	v_add_f64_e32 v[54:55], v[70:71], v[54:55]
	v_mul_f64_e32 v[70:71], s[26:27], v[133:134]
	s_delay_alu instid0(VALU_DEP_3) | instskip(NEXT) | instid1(VALU_DEP_2)
	v_add_f64_e32 v[58:59], v[60:61], v[58:59]
	v_fma_f64 v[72:73], v[135:136], s[22:23], v[70:71]
	v_fma_f64 v[60:61], v[135:136], s[22:23], -v[70:71]
	v_mul_f64_e32 v[70:71], s[2:3], v[128:129]
	s_delay_alu instid0(VALU_DEP_3) | instskip(SKIP_1) | instid1(VALU_DEP_4)
	v_add_f64_e32 v[56:57], v[72:73], v[56:57]
	v_mul_f64_e32 v[72:73], s[2:3], v[137:138]
	v_add_f64_e32 v[60:61], v[60:61], v[62:63]
	s_delay_alu instid0(VALU_DEP_2) | instskip(SKIP_3) | instid1(VALU_DEP_4)
	v_fma_f64 v[74:75], v[140:141], s[14:15], v[72:73]
	v_fma_f64 v[62:63], v[140:141], s[42:43], v[72:73]
	;; [unrolled: 1-line block ×4, first 2 shown]
	v_add_f64_e32 v[54:55], v[74:75], v[54:55]
	v_mul_f64_e32 v[74:75], s[42:43], v[142:143]
	v_add_f64_e32 v[58:59], v[62:63], v[58:59]
	s_delay_alu instid0(VALU_DEP_2) | instskip(SKIP_1) | instid1(VALU_DEP_2)
	v_fma_f64 v[86:87], v[144:145], s[2:3], v[74:75]
	v_fma_f64 v[62:63], v[144:145], s[2:3], -v[74:75]
	v_add_f64_e32 v[56:57], v[86:87], v[56:57]
	v_mul_f64_e32 v[86:87], s[16:17], v[146:147]
	s_delay_alu instid0(VALU_DEP_3) | instskip(NEXT) | instid1(VALU_DEP_2)
	v_add_f64_e32 v[60:61], v[62:63], v[60:61]
	v_fma_f64 v[150:151], v[148:149], s[36:37], v[86:87]
	v_fma_f64 v[62:63], v[148:149], s[20:21], v[86:87]
	s_delay_alu instid0(VALU_DEP_2) | instskip(SKIP_1) | instid1(VALU_DEP_3)
	v_add_f64_e32 v[54:55], v[150:151], v[54:55]
	v_add_f64_e64 v[150:151], v[30:31], -v[8:9]
	v_add_f64_e32 v[58:59], v[62:63], v[58:59]
	s_delay_alu instid0(VALU_DEP_2) | instskip(SKIP_2) | instid1(VALU_DEP_3)
	v_mul_f64_e32 v[154:155], s[20:21], v[150:151]
	v_mul_f64_e32 v[184:185], s[34:35], v[150:151]
	;; [unrolled: 1-line block ×3, first 2 shown]
	v_fma_f64 v[62:63], v[152:153], s[16:17], -v[154:155]
	v_fma_f64 v[156:157], v[152:153], s[16:17], v[154:155]
	s_delay_alu instid0(VALU_DEP_2) | instskip(SKIP_1) | instid1(VALU_DEP_3)
	v_add_f64_e32 v[62:63], v[62:63], v[60:61]
	v_fma_f64 v[60:61], v[160:161], s[34:35], v[162:163]
	v_add_f64_e32 v[156:157], v[156:157], v[56:57]
	v_fma_f64 v[56:57], v[160:161], s[18:19], v[162:163]
	v_mul_f64_e32 v[162:163], s[16:17], v[158:159]
	s_delay_alu instid0(VALU_DEP_4)
	v_add_f64_e32 v[60:61], v[60:61], v[58:59]
	v_add_f64_e32 v[58:59], v[66:67], v[62:63]
	v_mul_f64_e32 v[66:67], s[12:13], v[118:119]
	v_add_f64_e32 v[56:57], v[56:57], v[54:55]
	v_fma_f64 v[54:55], v[166:167], s[12:13], v[168:169]
	v_mul_f64_e32 v[168:169], s[20:21], v[164:165]
	s_delay_alu instid0(VALU_DEP_4) | instskip(SKIP_1) | instid1(VALU_DEP_4)
	v_fma_f64 v[62:63], v[0:1], s[18:19], v[66:67]
	v_fma_f64 v[66:67], v[0:1], s[34:35], v[66:67]
	v_add_f64_e32 v[54:55], v[54:55], v[156:157]
	s_delay_alu instid0(VALU_DEP_3) | instskip(SKIP_1) | instid1(VALU_DEP_4)
	v_add_f64_e32 v[62:63], v[62:63], v[64:65]
	v_fma_f64 v[64:65], v[122:123], s[12:13], v[68:69]
	v_add_f64_e32 v[66:67], v[66:67], v[90:91]
	v_fma_f64 v[68:69], v[122:123], s[12:13], -v[68:69]
	v_mul_f64_e32 v[90:91], s[10:11], v[128:129]
	v_add_f64_e32 v[62:63], v[72:73], v[62:63]
	v_mul_f64_e32 v[72:73], s[14:15], v[133:134]
	v_add_f64_e32 v[64:65], v[64:65], v[88:89]
	v_add_f64_e32 v[68:69], v[68:69], v[76:77]
	;; [unrolled: 1-line block ×3, first 2 shown]
	s_delay_alu instid0(VALU_DEP_4) | instskip(SKIP_2) | instid1(VALU_DEP_3)
	v_fma_f64 v[74:75], v[135:136], s[2:3], v[72:73]
	v_fma_f64 v[70:71], v[135:136], s[2:3], -v[72:73]
	v_fma_f64 v[72:73], v[166:167], s[16:17], -v[168:169]
	v_add_f64_e32 v[64:65], v[74:75], v[64:65]
	v_mul_f64_e32 v[74:75], s[24:25], v[137:138]
	s_delay_alu instid0(VALU_DEP_4) | instskip(NEXT) | instid1(VALU_DEP_2)
	v_add_f64_e32 v[68:69], v[70:71], v[68:69]
	v_fma_f64 v[86:87], v[140:141], s[28:29], v[74:75]
	v_fma_f64 v[70:71], v[140:141], s[40:41], v[74:75]
	;; [unrolled: 1-line block ×3, first 2 shown]
	s_delay_alu instid0(VALU_DEP_3) | instskip(SKIP_1) | instid1(VALU_DEP_4)
	v_add_f64_e32 v[62:63], v[86:87], v[62:63]
	v_mul_f64_e32 v[86:87], s[40:41], v[142:143]
	v_add_f64_e32 v[66:67], v[70:71], v[66:67]
	s_delay_alu instid0(VALU_DEP_2) | instskip(SKIP_2) | instid1(VALU_DEP_3)
	v_fma_f64 v[88:89], v[144:145], s[24:25], v[86:87]
	v_fma_f64 v[70:71], v[144:145], s[24:25], -v[86:87]
	v_mul_f64_e32 v[86:87], s[22:23], v[118:119]
	v_add_f64_e32 v[64:65], v[88:89], v[64:65]
	v_mul_f64_e32 v[88:89], s[10:11], v[146:147]
	s_delay_alu instid0(VALU_DEP_4) | instskip(NEXT) | instid1(VALU_DEP_2)
	v_add_f64_e32 v[68:69], v[70:71], v[68:69]
	v_fma_f64 v[154:155], v[148:149], s[6:7], v[88:89]
	v_fma_f64 v[70:71], v[148:149], s[38:39], v[88:89]
	v_mul_f64_e32 v[88:89], s[30:31], v[120:121]
	s_delay_alu instid0(VALU_DEP_3) | instskip(SKIP_1) | instid1(VALU_DEP_4)
	v_add_f64_e32 v[62:63], v[154:155], v[62:63]
	v_mul_f64_e32 v[154:155], s[38:39], v[150:151]
	v_add_f64_e32 v[66:67], v[70:71], v[66:67]
	s_delay_alu instid0(VALU_DEP_2) | instskip(SKIP_2) | instid1(VALU_DEP_3)
	v_fma_f64 v[70:71], v[152:153], s[10:11], -v[154:155]
	v_fma_f64 v[156:157], v[152:153], s[10:11], v[154:155]
	v_mul_f64_e32 v[154:155], s[18:19], v[142:143]
	v_add_f64_e32 v[70:71], v[70:71], v[68:69]
	v_fma_f64 v[68:69], v[160:161], s[20:21], v[162:163]
	s_delay_alu instid0(VALU_DEP_4) | instskip(SKIP_2) | instid1(VALU_DEP_4)
	v_add_f64_e32 v[156:157], v[156:157], v[64:65]
	v_fma_f64 v[64:65], v[160:161], s[36:37], v[162:163]
	v_mul_f64_e32 v[162:163], s[40:41], v[150:151]
	v_add_f64_e32 v[68:69], v[68:69], v[66:67]
	v_add_f64_e32 v[66:67], v[72:73], v[70:71]
	v_fma_f64 v[70:71], v[0:1], s[26:27], v[86:87]
	v_fma_f64 v[72:73], v[122:123], s[22:23], v[88:89]
	v_add_f64_e32 v[64:65], v[64:65], v[62:63]
	v_fma_f64 v[62:63], v[166:167], s[16:17], v[168:169]
	v_mul_f64_e32 v[168:169], s[2:3], v[158:159]
	v_fma_f64 v[86:87], v[0:1], s[30:31], v[86:87]
	v_fma_f64 v[88:89], v[122:123], s[22:23], -v[88:89]
	v_add_f64_e32 v[70:71], v[70:71], v[92:93]
	v_mul_f64_e32 v[92:93], s[38:39], v[133:134]
	v_add_f64_e32 v[72:73], v[72:73], v[94:95]
	v_mul_f64_e32 v[94:95], s[12:13], v[137:138]
	;; [unrolled: 2-line block ×3, first 2 shown]
	v_add_f64_e32 v[86:87], v[86:87], v[108:109]
	v_add_f64_e32 v[78:79], v[88:89], v[78:79]
	v_fma_f64 v[88:89], v[130:131], s[38:39], v[90:91]
	v_fma_f64 v[90:91], v[166:167], s[2:3], -v[170:171]
	v_add_f64_e32 v[70:71], v[74:75], v[70:71]
	v_fma_f64 v[74:75], v[135:136], s[10:11], v[92:93]
	s_delay_alu instid0(VALU_DEP_4) | instskip(SKIP_2) | instid1(VALU_DEP_4)
	v_add_f64_e32 v[86:87], v[88:89], v[86:87]
	v_fma_f64 v[88:89], v[135:136], s[10:11], -v[92:93]
	v_fma_f64 v[92:93], v[130:131], s[20:21], v[194:195]
	v_add_f64_e32 v[72:73], v[74:75], v[72:73]
	v_fma_f64 v[74:75], v[140:141], s[34:35], v[94:95]
	s_delay_alu instid0(VALU_DEP_4) | instskip(SKIP_2) | instid1(VALU_DEP_4)
	v_add_f64_e32 v[78:79], v[88:89], v[78:79]
	v_fma_f64 v[88:89], v[140:141], s[18:19], v[94:95]
	v_fma_f64 v[94:95], v[130:131], s[40:41], v[174:175]
	v_add_f64_e32 v[70:71], v[74:75], v[70:71]
	v_fma_f64 v[74:75], v[144:145], s[12:13], v[154:155]
	s_delay_alu instid0(VALU_DEP_4) | instskip(SKIP_1) | instid1(VALU_DEP_3)
	v_add_f64_e32 v[86:87], v[88:89], v[86:87]
	v_fma_f64 v[88:89], v[144:145], s[12:13], -v[154:155]
	v_add_f64_e32 v[72:73], v[74:75], v[72:73]
	v_fma_f64 v[74:75], v[148:149], s[28:29], v[156:157]
	s_delay_alu instid0(VALU_DEP_3) | instskip(SKIP_1) | instid1(VALU_DEP_3)
	v_add_f64_e32 v[78:79], v[88:89], v[78:79]
	v_fma_f64 v[88:89], v[148:149], s[40:41], v[156:157]
	v_add_f64_e32 v[70:71], v[74:75], v[70:71]
	v_fma_f64 v[74:75], v[152:153], s[24:25], v[162:163]
	s_delay_alu instid0(VALU_DEP_3) | instskip(SKIP_1) | instid1(VALU_DEP_3)
	v_add_f64_e32 v[86:87], v[88:89], v[86:87]
	v_fma_f64 v[88:89], v[152:153], s[24:25], -v[162:163]
	v_add_f64_e32 v[74:75], v[74:75], v[72:73]
	v_fma_f64 v[72:73], v[160:161], s[14:15], v[168:169]
	s_delay_alu instid0(VALU_DEP_3) | instskip(SKIP_1) | instid1(VALU_DEP_3)
	v_add_f64_e32 v[78:79], v[88:89], v[78:79]
	v_fma_f64 v[88:89], v[160:161], s[42:43], v[168:169]
	v_add_f64_e32 v[72:73], v[72:73], v[70:71]
	v_fma_f64 v[70:71], v[166:167], s[2:3], v[170:171]
	s_delay_alu instid0(VALU_DEP_3)
	v_add_f64_e32 v[88:89], v[88:89], v[86:87]
	v_add_f64_e32 v[86:87], v[90:91], v[78:79]
	v_fma_f64 v[78:79], v[0:1], s[40:41], v[190:191]
	v_fma_f64 v[90:91], v[122:123], s[24:25], v[192:193]
	v_add_f64_e32 v[70:71], v[70:71], v[74:75]
	v_fma_f64 v[74:75], v[0:1], s[20:21], v[172:173]
	s_delay_alu instid0(VALU_DEP_4) | instskip(NEXT) | instid1(VALU_DEP_4)
	v_add_f64_e32 v[78:79], v[78:79], v[110:111]
	v_add_f64_e32 v[90:91], v[90:91], v[96:97]
	v_mul_f64_e32 v[110:111], s[12:13], v[128:129]
	v_mul_f64_e32 v[128:129], s[26:27], v[150:151]
	v_add_f64_e32 v[74:75], v[74:75], v[115:116]
	v_mul_f64_e32 v[115:116], s[20:21], v[120:121]
	v_add_f64_e32 v[78:79], v[92:93], v[78:79]
	v_fma_f64 v[92:93], v[135:136], s[16:17], v[196:197]
	s_delay_alu instid0(VALU_DEP_3) | instskip(NEXT) | instid1(VALU_DEP_2)
	v_fma_f64 v[76:77], v[122:123], s[16:17], -v[115:116]
	v_add_f64_e32 v[90:91], v[92:93], v[90:91]
	v_fma_f64 v[92:93], v[140:141], s[6:7], v[198:199]
	s_delay_alu instid0(VALU_DEP_3) | instskip(SKIP_1) | instid1(VALU_DEP_3)
	v_add_f64_e32 v[76:77], v[76:77], v[84:85]
	v_fma_f64 v[84:85], v[130:131], s[28:29], v[174:175]
	v_add_f64_e32 v[78:79], v[92:93], v[78:79]
	v_fma_f64 v[92:93], v[144:145], s[10:11], v[200:201]
	s_delay_alu instid0(VALU_DEP_3) | instskip(SKIP_1) | instid1(VALU_DEP_3)
	v_add_f64_e32 v[74:75], v[84:85], v[74:75]
	v_fma_f64 v[84:85], v[135:136], s[24:25], -v[176:177]
	v_add_f64_e32 v[90:91], v[92:93], v[90:91]
	v_fma_f64 v[92:93], v[148:149], s[42:43], v[202:203]
	s_delay_alu instid0(VALU_DEP_3) | instskip(SKIP_1) | instid1(VALU_DEP_3)
	v_add_f64_e32 v[76:77], v[84:85], v[76:77]
	v_fma_f64 v[84:85], v[140:141], s[30:31], v[178:179]
	v_add_f64_e32 v[78:79], v[92:93], v[78:79]
	v_fma_f64 v[92:93], v[152:153], s[2:3], v[204:205]
	s_delay_alu instid0(VALU_DEP_3) | instskip(SKIP_1) | instid1(VALU_DEP_3)
	v_add_f64_e32 v[74:75], v[84:85], v[74:75]
	v_fma_f64 v[84:85], v[144:145], s[22:23], -v[180:181]
	v_add_f64_e32 v[90:91], v[92:93], v[90:91]
	v_fma_f64 v[92:93], v[160:161], s[30:31], v[206:207]
	s_delay_alu instid0(VALU_DEP_3) | instskip(SKIP_1) | instid1(VALU_DEP_3)
	v_add_f64_e32 v[76:77], v[84:85], v[76:77]
	v_fma_f64 v[84:85], v[148:149], s[34:35], v[182:183]
	v_add_f64_e32 v[92:93], v[92:93], v[78:79]
	v_fma_f64 v[78:79], v[122:123], s[16:17], v[115:116]
	v_mul_f64_e32 v[115:116], s[16:17], v[137:138]
	v_mul_f64_e32 v[137:138], s[28:29], v[164:165]
	v_add_f64_e32 v[74:75], v[84:85], v[74:75]
	v_fma_f64 v[84:85], v[152:153], s[12:13], -v[184:185]
	v_add_f64_e32 v[78:79], v[78:79], v[98:99]
	v_fma_f64 v[98:99], v[166:167], s[10:11], v[188:189]
	s_delay_alu instid0(VALU_DEP_3) | instskip(SKIP_1) | instid1(VALU_DEP_1)
	v_add_f64_e32 v[84:85], v[84:85], v[76:77]
	v_fma_f64 v[76:77], v[160:161], s[38:39], v[186:187]
	v_add_f64_e32 v[76:77], v[76:77], v[74:75]
	v_fma_f64 v[74:75], v[166:167], s[10:11], -v[188:189]
	s_delay_alu instid0(VALU_DEP_1) | instskip(SKIP_1) | instid1(VALU_DEP_1)
	v_add_f64_e32 v[74:75], v[74:75], v[84:85]
	v_fma_f64 v[84:85], v[0:1], s[28:29], v[190:191]
	v_add_f64_e32 v[42:43], v[84:85], v[42:43]
	v_fma_f64 v[84:85], v[122:123], s[24:25], -v[192:193]
	s_delay_alu instid0(VALU_DEP_1) | instskip(SKIP_1) | instid1(VALU_DEP_1)
	;; [unrolled: 5-line block ×5, first 2 shown]
	v_add_f64_e32 v[82:83], v[84:85], v[82:83]
	v_fma_f64 v[84:85], v[160:161], s[26:27], v[206:207]
	v_add_f64_e32 v[84:85], v[84:85], v[42:43]
	v_mul_f64_e32 v[42:43], s[26:27], v[164:165]
	s_delay_alu instid0(VALU_DEP_1) | instskip(SKIP_1) | instid1(VALU_DEP_2)
	v_fma_f64 v[208:209], v[166:167], s[22:23], -v[42:43]
	v_fma_f64 v[42:43], v[166:167], s[22:23], v[42:43]
	v_add_f64_e32 v[82:83], v[208:209], v[82:83]
	s_delay_alu instid0(VALU_DEP_2) | instskip(SKIP_1) | instid1(VALU_DEP_1)
	v_add_f64_e32 v[90:91], v[42:43], v[90:91]
	v_fma_f64 v[42:43], v[0:1], s[36:37], v[172:173]
	v_add_f64_e32 v[42:43], v[42:43], v[113:114]
	v_mul_f64_e32 v[113:114], s[18:19], v[133:134]
	v_mul_f64_e32 v[133:134], s[24:25], v[158:159]
	s_delay_alu instid0(VALU_DEP_3) | instskip(SKIP_1) | instid1(VALU_DEP_1)
	v_add_f64_e32 v[42:43], v[94:95], v[42:43]
	v_fma_f64 v[94:95], v[135:136], s[24:25], v[176:177]
	v_add_f64_e32 v[78:79], v[94:95], v[78:79]
	v_fma_f64 v[94:95], v[140:141], s[26:27], v[178:179]
	s_delay_alu instid0(VALU_DEP_1) | instskip(SKIP_1) | instid1(VALU_DEP_1)
	v_add_f64_e32 v[42:43], v[94:95], v[42:43]
	v_fma_f64 v[94:95], v[144:145], s[22:23], v[180:181]
	v_add_f64_e32 v[78:79], v[94:95], v[78:79]
	v_fma_f64 v[94:95], v[148:149], s[18:19], v[182:183]
	s_delay_alu instid0(VALU_DEP_1) | instskip(SKIP_1) | instid1(VALU_DEP_1)
	v_add_f64_e32 v[42:43], v[94:95], v[42:43]
	v_fma_f64 v[94:95], v[152:153], s[12:13], v[184:185]
	v_add_f64_e32 v[78:79], v[94:95], v[78:79]
	v_fma_f64 v[94:95], v[160:161], s[6:7], v[186:187]
	s_delay_alu instid0(VALU_DEP_1) | instskip(SKIP_1) | instid1(VALU_DEP_4)
	v_add_f64_e32 v[96:97], v[94:95], v[42:43]
	v_mul_f64_e32 v[42:43], s[2:3], v[118:119]
	v_add_f64_e32 v[94:95], v[98:99], v[78:79]
	v_mul_f64_e32 v[118:119], s[20:21], v[142:143]
	s_delay_alu instid0(VALU_DEP_3) | instskip(SKIP_1) | instid1(VALU_DEP_2)
	v_fma_f64 v[78:79], v[0:1], s[14:15], v[42:43]
	v_fma_f64 v[0:1], v[0:1], s[42:43], v[42:43]
	v_add_f64_e32 v[2:3], v[78:79], v[2:3]
	v_mul_f64_e32 v[78:79], s[14:15], v[120:121]
	v_mul_f64_e32 v[120:121], s[22:23], v[146:147]
	s_delay_alu instid0(VALU_DEP_4) | instskip(NEXT) | instid1(VALU_DEP_3)
	v_add_f64_e32 v[0:1], v[0:1], v[38:39]
	v_fma_f64 v[98:99], v[122:123], s[2:3], -v[78:79]
	s_delay_alu instid0(VALU_DEP_1) | instskip(SKIP_1) | instid1(VALU_DEP_1)
	v_add_f64_e32 v[98:99], v[98:99], v[106:107]
	v_fma_f64 v[106:107], v[130:131], s[18:19], v[110:111]
	v_add_f64_e32 v[2:3], v[106:107], v[2:3]
	v_fma_f64 v[106:107], v[135:136], s[12:13], -v[113:114]
	s_delay_alu instid0(VALU_DEP_1) | instskip(SKIP_1) | instid1(VALU_DEP_1)
	v_add_f64_e32 v[98:99], v[106:107], v[98:99]
	v_fma_f64 v[106:107], v[140:141], s[20:21], v[115:116]
	v_add_f64_e32 v[2:3], v[106:107], v[2:3]
	v_fma_f64 v[106:107], v[144:145], s[16:17], -v[118:119]
	s_delay_alu instid0(VALU_DEP_1) | instskip(SKIP_1) | instid1(VALU_DEP_1)
	v_add_f64_e32 v[98:99], v[106:107], v[98:99]
	v_fma_f64 v[106:107], v[148:149], s[26:27], v[120:121]
	v_add_f64_e32 v[2:3], v[106:107], v[2:3]
	v_fma_f64 v[106:107], v[152:153], s[22:23], -v[128:129]
	s_delay_alu instid0(VALU_DEP_1) | instskip(SKIP_1) | instid1(VALU_DEP_1)
	v_add_f64_e32 v[98:99], v[106:107], v[98:99]
	v_fma_f64 v[106:107], v[160:161], s[28:29], v[133:134]
	v_add_f64_e32 v[108:109], v[106:107], v[2:3]
	v_fma_f64 v[2:3], v[166:167], s[24:25], -v[137:138]
	s_delay_alu instid0(VALU_DEP_1) | instskip(SKIP_2) | instid1(VALU_DEP_2)
	v_add_f64_e32 v[106:107], v[2:3], v[98:99]
	v_add_f64_e32 v[2:3], v[6:7], v[48:49]
	;; [unrolled: 1-line block ×4, first 2 shown]
	s_delay_alu instid0(VALU_DEP_2) | instskip(NEXT) | instid1(VALU_DEP_2)
	v_add_f64_e32 v[6:7], v[6:7], v[46:47]
	v_add_f64_e32 v[2:3], v[2:3], v[100:101]
	s_delay_alu instid0(VALU_DEP_2) | instskip(NEXT) | instid1(VALU_DEP_2)
	v_add_f64_e32 v[6:7], v[6:7], v[80:81]
	v_add_f64_e32 v[2:3], v[2:3], v[30:31]
	s_delay_alu instid0(VALU_DEP_2) | instskip(SKIP_1) | instid1(VALU_DEP_3)
	v_add_f64_e32 v[6:7], v[6:7], v[10:11]
	v_fma_f64 v[10:11], v[135:136], s[12:13], v[113:114]
	v_add_f64_e32 v[2:3], v[2:3], v[52:53]
	s_delay_alu instid0(VALU_DEP_3) | instskip(NEXT) | instid1(VALU_DEP_2)
	v_add_f64_e32 v[6:7], v[6:7], v[16:17]
	v_add_f64_e32 v[2:3], v[2:3], v[18:19]
	s_delay_alu instid0(VALU_DEP_2) | instskip(NEXT) | instid1(VALU_DEP_2)
	v_add_f64_e32 v[6:7], v[6:7], v[28:29]
	v_add_f64_e32 v[2:3], v[2:3], v[8:9]
	s_delay_alu instid0(VALU_DEP_2) | instskip(SKIP_1) | instid1(VALU_DEP_3)
	v_add_f64_e32 v[4:5], v[6:7], v[4:5]
	v_fma_f64 v[8:9], v[130:131], s[34:35], v[110:111]
	v_add_f64_e32 v[2:3], v[2:3], v[20:21]
	s_delay_alu instid0(VALU_DEP_3) | instskip(NEXT) | instid1(VALU_DEP_3)
	v_add_f64_e32 v[4:5], v[4:5], v[22:23]
	v_add_f64_e32 v[0:1], v[8:9], v[0:1]
	v_fma_f64 v[8:9], v[148:149], s[30:31], v[120:121]
	s_delay_alu instid0(VALU_DEP_4) | instskip(NEXT) | instid1(VALU_DEP_4)
	v_add_f64_e32 v[2:3], v[2:3], v[32:33]
	v_add_f64_e32 v[4:5], v[4:5], v[34:35]
	s_delay_alu instid0(VALU_DEP_2) | instskip(NEXT) | instid1(VALU_DEP_2)
	v_add_f64_e32 v[2:3], v[2:3], v[12:13]
	v_add_f64_e32 v[6:7], v[4:5], v[14:15]
	v_fma_f64 v[12:13], v[140:141], s[36:37], v[115:116]
	v_fma_f64 v[14:15], v[144:145], s[16:17], v[118:119]
	s_delay_alu instid0(VALU_DEP_4) | instskip(NEXT) | instid1(VALU_DEP_4)
	v_add_f64_e32 v[4:5], v[2:3], v[24:25]
	v_add_f64_e32 v[2:3], v[6:7], v[26:27]
	v_fma_f64 v[6:7], v[122:123], s[2:3], v[78:79]
	v_add_f64_e32 v[0:1], v[12:13], v[0:1]
	v_fma_f64 v[12:13], v[160:161], s[40:41], v[133:134]
	s_delay_alu instid0(VALU_DEP_3) | instskip(NEXT) | instid1(VALU_DEP_3)
	v_add_f64_e32 v[6:7], v[6:7], v[40:41]
	v_add_f64_e32 v[0:1], v[8:9], v[0:1]
	s_delay_alu instid0(VALU_DEP_2) | instskip(SKIP_1) | instid1(VALU_DEP_3)
	v_add_f64_e32 v[6:7], v[10:11], v[6:7]
	v_fma_f64 v[10:11], v[152:153], s[22:23], v[128:129]
	v_add_f64_e32 v[8:9], v[12:13], v[0:1]
	v_lshrrev_b32_e32 v0, 2, v117
	s_delay_alu instid0(VALU_DEP_1) | instskip(NEXT) | instid1(VALU_DEP_1)
	v_mul_lo_u32 v0, v0, 52
	v_or_b32_e32 v0, v0, v139
	s_delay_alu instid0(VALU_DEP_1) | instskip(SKIP_2) | instid1(VALU_DEP_2)
	v_lshl_add_u32 v0, v0, 4, 0
	v_add_f64_e32 v[6:7], v[14:15], v[6:7]
	v_fma_f64 v[14:15], v[166:167], s[24:25], v[137:138]
	v_add_f64_e32 v[6:7], v[10:11], v[6:7]
	s_delay_alu instid0(VALU_DEP_1)
	v_add_f64_e32 v[6:7], v[14:15], v[6:7]
	ds_store_b128 v0, v[74:77] offset:128
	ds_store_b128 v0, v[82:85] offset:192
	;; [unrolled: 1-line block ×11, first 2 shown]
	ds_store_b128 v0, v[2:5]
	ds_store_b128 v0, v[6:9] offset:768
.LBB0_23:
	s_or_b32 exec_lo, exec_lo, s33
	v_and_b32_e32 v0, 0xff, v126
	v_mul_u32_u24_e32 v1, 6, v112
	global_wb scope:SCOPE_SE
	s_wait_dscnt 0x0
	s_barrier_signal -1
	s_barrier_wait -1
	v_mul_lo_u16 v0, 0x4f, v0
	v_lshlrev_b32_e32 v1, 4, v1
	global_inv scope:SCOPE_SE
	v_lshl_add_u32 v192, v125, 4, 0
	v_lshl_add_u32 v194, v117, 4, 0
	v_lshrrev_b16 v0, 12, v0
	s_clause 0x3
	global_load_b128 v[28:31], v1, s[4:5] offset:800
	global_load_b128 v[34:37], v1, s[4:5] offset:816
	;; [unrolled: 1-line block ×4, first 2 shown]
	v_lshl_add_u32 v193, v126, 4, 0
	s_mov_b32 s10, 0x37e14327
	v_mul_lo_u16 v0, v0, 52
	s_mov_b32 s2, 0x36b3c0b5
	s_mov_b32 s14, 0xe976ee23
	;; [unrolled: 1-line block ×4, first 2 shown]
	v_sub_nc_u16 v0, v126, v0
	s_mov_b32 s15, 0xbfe11646
	s_mov_b32 s6, 0x429ad128
	;; [unrolled: 1-line block ×4, first 2 shown]
	v_and_b32_e32 v108, 0xff, v0
	s_mov_b32 s16, 0x5476071b
	s_mov_b32 s22, 0xb247c609
	;; [unrolled: 1-line block ×4, first 2 shown]
	v_mul_u32_u24_e32 v0, 6, v108
	s_mov_b32 s21, 0xbfe77f67
	s_mov_b32 s23, 0x3fd5d0dc
	s_wait_alu 0xfffe
	s_mov_b32 s20, s16
	s_mov_b32 s25, 0xbfd5d0dc
	v_lshlrev_b32_e32 v0, 4, v0
	s_mov_b32 s24, s22
	s_mov_b32 s18, 0x37c3f68c
	s_clause 0x7
	global_load_b128 v[56:59], v1, s[4:5] offset:832
	global_load_b128 v[60:63], v1, s[4:5] offset:848
	;; [unrolled: 1-line block ×8, first 2 shown]
	scratch_load_b32 v0, off, off offset:108 th:TH_LOAD_LU ; 4-byte Folded Reload
	s_mov_b32 s19, 0x3fdc38aa
	s_wait_loadcnt 0x0
	v_add_nc_u32_e32 v107, v0, v102
	scratch_load_b32 v0, off, off offset:112 th:TH_LOAD_LU ; 4-byte Folded Reload
	ds_load_b128 v[76:79], v132 offset:14976
	ds_load_b128 v[8:11], v132
	ds_load_b128 v[88:91], v132 offset:3328
	ds_load_b128 v[84:87], v132 offset:12480
	;; [unrolled: 1-line block ×3, first 2 shown]
	ds_load_b128 v[72:75], v192
	ds_load_b128 v[80:83], v107
	;; [unrolled: 1-line block ×3, first 2 shown]
	s_wait_dscnt 0x7
	v_mul_f64_e32 v[100:101], v[78:79], v[40:41]
	s_wait_dscnt 0x5
	v_mul_f64_e32 v[120:121], v[90:91], v[30:31]
	s_wait_dscnt 0x4
	v_mul_f64_e32 v[109:110], v[86:87], v[44:45]
	s_wait_dscnt 0x3
	v_mul_f64_e32 v[137:138], v[92:93], v[44:45]
	s_wait_dscnt 0x2
	v_mul_f64_e32 v[32:33], v[74:75], v[30:31]
	v_mul_f64_e32 v[46:47], v[72:73], v[30:31]
	s_wait_dscnt 0x1
	v_mul_f64_e32 v[96:97], v[82:83], v[36:37]
	v_mul_f64_e32 v[98:99], v[80:81], v[36:37]
	;; [unrolled: 1-line block ×5, first 2 shown]
	v_fma_f64 v[84:85], v[84:85], v[42:43], -v[109:110]
	v_fma_f64 v[72:73], v[72:73], v[28:29], -v[32:33]
	v_fma_f64 v[74:75], v[74:75], v[28:29], v[46:47]
	v_fma_f64 v[80:81], v[80:81], v[34:35], -v[96:97]
	v_fma_f64 v[82:83], v[82:83], v[34:35], v[98:99]
	v_fma_f64 v[46:47], v[94:95], v[42:43], v[137:138]
	;; [unrolled: 1-line block ×3, first 2 shown]
	v_fma_f64 v[44:45], v[92:93], v[42:43], -v[135:136]
	s_wait_loadcnt 0x0
	v_add_nc_u32_e32 v106, v0, v103
	ds_load_b128 v[0:3], v193
	ds_load_b128 v[113:116], v132 offset:5824
	ds_load_b128 v[128:131], v132 offset:4160
	;; [unrolled: 1-line block ×11, first 2 shown]
	v_mul_f64_e32 v[102:103], v[76:77], v[40:41]
	v_fma_f64 v[76:77], v[76:77], v[38:39], -v[100:101]
	ds_load_b128 v[168:171], v106
	s_wait_dscnt 0xb
	v_mul_f64_e32 v[122:123], v[115:116], v[36:37]
	v_mul_f64_e32 v[36:37], v[113:114], v[36:37]
	s_wait_dscnt 0xa
	v_mul_f64_e32 v[180:181], v[130:131], v[50:51]
	v_mul_f64_e32 v[50:51], v[128:129], v[50:51]
	;; [unrolled: 3-line block ×4, first 2 shown]
	s_wait_dscnt 0x3
	v_mul_f64_e32 v[186:187], v[158:159], v[70:71]
	s_wait_dscnt 0x2
	v_mul_f64_e32 v[133:134], v[162:163], v[40:41]
	v_mul_f64_e32 v[40:41], v[160:161], v[40:41]
	;; [unrolled: 1-line block ×5, first 2 shown]
	s_wait_dscnt 0x0
	v_mul_f64_e32 v[172:173], v[170:171], v[58:59]
	v_mul_f64_e32 v[174:175], v[168:169], v[58:59]
	;; [unrolled: 1-line block ×7, first 2 shown]
	v_fma_f64 v[18:19], v[90:91], v[28:29], v[30:31]
	v_mul_f64_e32 v[188:189], v[142:143], v[58:59]
	v_mul_f64_e32 v[58:59], v[140:141], v[58:59]
	v_fma_f64 v[78:79], v[78:79], v[38:39], v[102:103]
	v_mul_f64_e32 v[102:103], v[24:25], v[14:15]
	v_fma_f64 v[14:15], v[88:89], v[28:29], -v[120:121]
	v_fma_f64 v[32:33], v[113:114], v[34:35], -v[122:123]
	v_fma_f64 v[34:35], v[115:116], v[34:35], v[36:37]
	v_fma_f64 v[36:37], v[128:129], v[48:49], -v[180:181]
	v_mov_b32_e32 v128, 0
	v_fma_f64 v[92:93], v[148:149], v[60:61], -v[176:177]
	v_fma_f64 v[94:95], v[150:151], v[60:61], v[178:179]
	v_lshlrev_b32_e32 v139, 1, v117
	v_fma_f64 v[28:29], v[160:161], v[38:39], -v[133:134]
	v_fma_f64 v[30:31], v[162:163], v[38:39], v[40:41]
	v_fma_f64 v[38:39], v[130:131], v[48:49], v[50:51]
	v_fma_f64 v[48:49], v[156:157], v[68:69], -v[186:187]
	v_fma_f64 v[50:51], v[158:159], v[68:69], v[70:71]
	v_fma_f64 v[68:69], v[152:153], v[60:61], -v[190:191]
	v_fma_f64 v[70:71], v[154:155], v[60:61], v[62:63]
	s_clause 0x1
	scratch_load_b64 v[153:154], off, off offset:60 th:TH_LOAD_LU
	scratch_load_b64 v[151:152], off, off offset:52 th:TH_LOAD_LU
	v_fma_f64 v[88:89], v[168:169], v[56:57], -v[172:173]
	v_fma_f64 v[90:91], v[170:171], v[56:57], v[174:175]
	v_fma_f64 v[40:41], v[144:145], v[52:53], -v[182:183]
	v_fma_f64 v[42:43], v[146:147], v[52:53], v[54:55]
	;; [unrolled: 2-line block ×4, first 2 shown]
	v_add_f64_e32 v[56:57], v[72:73], v[76:77]
	v_add_f64_e32 v[60:61], v[80:81], v[84:85]
	;; [unrolled: 1-line block ×4, first 2 shown]
	v_fma_f64 v[20:21], v[20:21], v[16:17], -v[96:97]
	v_fma_f64 v[16:17], v[22:23], v[16:17], v[98:99]
	v_fma_f64 v[22:23], v[24:25], v[12:13], -v[100:101]
	v_fma_f64 v[12:13], v[26:27], v[12:13], v[102:103]
	v_add_f64_e64 v[80:81], v[80:81], -v[84:85]
	v_add_f64_e64 v[82:83], v[82:83], -v[86:87]
	;; [unrolled: 1-line block ×4, first 2 shown]
	v_add_f64_e32 v[96:97], v[32:33], v[44:45]
	v_add_f64_e32 v[98:99], v[34:35], v[46:47]
	v_add_f64_e64 v[32:33], v[32:33], -v[44:45]
	v_add_f64_e64 v[34:35], v[34:35], -v[46:47]
	v_mov_b32_e32 v140, v128
	v_lshlrev_b64_e32 v[100:101], 4, v[127:128]
	v_dual_mov_b32 v160, v128 :: v_dual_lshlrev_b32 v159, 1, v126
	v_dual_mov_b32 v158, v128 :: v_dual_lshlrev_b32 v157, 1, v125
	v_add_f64_e32 v[24:25], v[14:15], v[28:29]
	v_add_f64_e32 v[26:27], v[18:19], v[30:31]
	v_add_f64_e64 v[14:15], v[14:15], -v[28:29]
	v_add_f64_e64 v[18:19], v[18:19], -v[30:31]
	v_add_co_u32 v100, s1, s4, v100
	v_dual_mov_b32 v156, v128 :: v_dual_lshlrev_b32 v155, 1, v124
	v_add_f64_e32 v[84:85], v[88:89], v[92:93]
	v_add_f64_e32 v[86:87], v[90:91], v[94:95]
	v_add_f64_e64 v[88:89], v[92:93], -v[88:89]
	v_add_f64_e64 v[90:91], v[94:95], -v[90:91]
	v_add_f64_e32 v[92:93], v[36:37], v[52:53]
	v_add_f64_e32 v[94:95], v[38:39], v[54:55]
	;; [unrolled: 1-line block ×8, first 2 shown]
	v_add_f64_e64 v[64:65], v[68:69], -v[64:65]
	v_add_f64_e64 v[66:67], v[70:71], -v[66:67]
	v_add_f64_e64 v[28:29], v[36:37], -v[52:53]
	v_add_f64_e64 v[30:31], v[38:39], -v[54:55]
	v_add_f64_e64 v[36:37], v[40:41], -v[48:49]
	v_add_f64_e64 v[38:39], v[42:43], -v[50:51]
	v_add_f64_e32 v[40:41], v[20:21], v[22:23]
	v_add_f64_e32 v[42:43], v[16:17], v[12:13]
	v_add_f64_e64 v[20:21], v[22:23], -v[20:21]
	v_add_f64_e64 v[12:13], v[12:13], -v[16:17]
	;; [unrolled: 1-line block ×4, first 2 shown]
	s_wait_alu 0xf1ff
	v_add_co_ci_u32_e64 v101, s1, s5, v101, s1
	s_wait_loadcnt 0x1
	v_mov_b32_e32 v154, v128
	s_wait_loadcnt 0x0
	v_mov_b32_e32 v152, v128
	global_wb scope:SCOPE_SE
	s_barrier_signal -1
	v_add_f64_e32 v[48:49], v[96:97], v[24:25]
	v_add_f64_e32 v[50:51], v[98:99], v[26:27]
	v_add_f64_e64 v[118:119], v[96:97], -v[24:25]
	v_add_f64_e64 v[120:121], v[98:99], -v[26:27]
	s_barrier_wait -1
	global_inv scope:SCOPE_SE
	v_add_f64_e64 v[52:53], v[56:57], -v[84:85]
	v_add_f64_e64 v[54:55], v[58:59], -v[86:87]
	;; [unrolled: 1-line block ×6, first 2 shown]
	v_add_f64_e32 v[68:69], v[102:103], v[92:93]
	v_add_f64_e32 v[70:71], v[109:110], v[94:95]
	;; [unrolled: 1-line block ×6, first 2 shown]
	v_add_f64_e64 v[80:81], v[80:81], -v[72:73]
	v_add_f64_e64 v[82:83], v[82:83], -v[74:75]
	;; [unrolled: 1-line block ×6, first 2 shown]
	v_add_f64_e32 v[84:85], v[64:65], v[32:33]
	v_add_f64_e32 v[86:87], v[66:67], v[34:35]
	v_add_f64_e64 v[32:33], v[32:33], -v[14:15]
	v_add_f64_e64 v[34:35], v[34:35], -v[18:19]
	;; [unrolled: 1-line block ×10, first 2 shown]
	v_add_f64_e32 v[48:49], v[76:77], v[48:49]
	v_add_f64_e32 v[50:51], v[78:79], v[50:51]
	;; [unrolled: 1-line block ×4, first 2 shown]
	v_add_f64_e64 v[102:103], v[40:41], -v[102:103]
	v_add_f64_e64 v[109:110], v[42:43], -v[109:110]
	;; [unrolled: 1-line block ×6, first 2 shown]
	v_mul_f64_e32 v[52:53], s[10:11], v[52:53]
	v_mul_f64_e32 v[54:55], s[10:11], v[54:55]
	;; [unrolled: 1-line block ×4, first 2 shown]
	v_add_f64_e32 v[40:41], v[40:41], v[68:69]
	v_add_f64_e32 v[42:43], v[42:43], v[70:71]
	v_mul_f64_e32 v[68:69], s[2:3], v[56:57]
	v_mul_f64_e32 v[70:71], s[2:3], v[58:59]
	v_add_f64_e32 v[8:9], v[8:9], v[44:45]
	v_add_f64_e32 v[10:11], v[10:11], v[46:47]
	;; [unrolled: 1-line block ×4, first 2 shown]
	v_mul_f64_e32 v[72:73], s[6:7], v[80:81]
	v_mul_f64_e32 v[74:75], s[6:7], v[82:83]
	v_add_f64_e64 v[64:65], v[14:15], -v[64:65]
	v_add_f64_e64 v[66:67], v[18:19], -v[66:67]
	v_mul_f64_e32 v[24:25], s[10:11], v[24:25]
	v_mul_f64_e32 v[26:27], s[10:11], v[26:27]
	;; [unrolled: 1-line block ×4, first 2 shown]
	v_add_f64_e32 v[14:15], v[84:85], v[14:15]
	v_add_f64_e32 v[18:19], v[86:87], v[18:19]
	v_mul_f64_e32 v[84:85], s[6:7], v[32:33]
	v_mul_f64_e32 v[86:87], s[6:7], v[34:35]
	;; [unrolled: 1-line block ×4, first 2 shown]
	v_add_f64_e64 v[20:21], v[28:29], -v[20:21]
	v_add_f64_e64 v[12:13], v[30:31], -v[12:13]
	v_add_f64_e32 v[4:5], v[4:5], v[48:49]
	v_add_f64_e32 v[6:7], v[6:7], v[50:51]
	;; [unrolled: 1-line block ×4, first 2 shown]
	v_mul_f64_e32 v[76:77], s[10:11], v[92:93]
	v_mul_f64_e32 v[78:79], s[10:11], v[94:95]
	;; [unrolled: 1-line block ×8, first 2 shown]
	v_fma_f64 v[56:57], v[56:57], s[2:3], v[52:53]
	v_fma_f64 v[58:59], v[58:59], s[2:3], v[54:55]
	v_add_f64_e32 v[0:1], v[0:1], v[40:41]
	v_add_f64_e32 v[2:3], v[2:3], v[42:43]
	v_fma_f64 v[68:69], v[16:17], s[16:17], -v[68:69]
	v_fma_f64 v[70:71], v[22:23], s[16:17], -v[70:71]
	s_wait_alu 0xfffe
	v_fma_f64 v[16:17], v[16:17], s[20:21], -v[52:53]
	v_fma_f64 v[22:23], v[22:23], s[20:21], -v[54:55]
	v_fma_f64 v[52:53], v[88:89], s[22:23], v[113:114]
	v_fma_f64 v[54:55], v[90:91], s[22:23], v[115:116]
	;; [unrolled: 1-line block ×4, first 2 shown]
	v_fma_f64 v[80:81], v[80:81], s[6:7], -v[113:114]
	v_fma_f64 v[82:83], v[82:83], s[6:7], -v[115:116]
	;; [unrolled: 1-line block ×4, first 2 shown]
	v_fma_f64 v[88:89], v[96:97], s[2:3], v[24:25]
	v_fma_f64 v[90:91], v[98:99], s[2:3], v[26:27]
	v_fma_f64 v[113:114], v[64:65], s[22:23], v[122:123]
	v_fma_f64 v[115:116], v[66:67], s[22:23], v[129:130]
	v_fma_f64 v[64:65], v[64:65], s[24:25], -v[84:85]
	v_fma_f64 v[66:67], v[66:67], s[24:25], -v[86:87]
	;; [unrolled: 1-line block ×6, first 2 shown]
	v_fma_f64 v[48:49], v[48:49], s[12:13], v[4:5]
	v_fma_f64 v[50:51], v[50:51], s[12:13], v[6:7]
	v_fma_f64 v[32:33], v[32:33], s[6:7], -v[122:123]
	v_fma_f64 v[34:35], v[34:35], s[6:7], -v[129:130]
	v_fma_f64 v[84:85], v[102:103], s[2:3], v[76:77]
	v_fma_f64 v[86:87], v[109:110], s[2:3], v[78:79]
	;; [unrolled: 1-line block ×4, first 2 shown]
	v_fma_f64 v[20:21], v[20:21], s[24:25], -v[147:148]
	v_fma_f64 v[12:13], v[12:13], s[24:25], -v[149:150]
	;; [unrolled: 1-line block ×6, first 2 shown]
	v_fma_f64 v[40:41], v[40:41], s[12:13], v[0:1]
	v_fma_f64 v[42:43], v[42:43], s[12:13], v[2:3]
	v_fma_f64 v[92:93], v[133:134], s[16:17], -v[137:138]
	v_fma_f64 v[94:95], v[135:136], s[16:17], -v[141:142]
	v_lshlrev_b64_e32 v[118:119], 4, v[139:140]
	v_lshlrev_b64_e32 v[120:121], 4, v[159:160]
	v_fma_f64 v[52:53], v[60:61], s[18:19], v[52:53]
	v_fma_f64 v[54:55], v[62:63], s[18:19], v[54:55]
	v_add_f64_e32 v[56:57], v[56:57], v[44:45]
	v_add_f64_e32 v[58:59], v[58:59], v[46:47]
	v_fma_f64 v[80:81], v[60:61], s[18:19], v[80:81]
	v_fma_f64 v[82:83], v[62:63], s[18:19], v[82:83]
	;; [unrolled: 1-line block ×4, first 2 shown]
	v_add_f64_e32 v[72:73], v[16:17], v[44:45]
	v_add_f64_e32 v[74:75], v[22:23], v[46:47]
	;; [unrolled: 1-line block ×4, first 2 shown]
	v_fma_f64 v[68:69], v[14:15], s[18:19], v[113:114]
	v_fma_f64 v[70:71], v[18:19], s[18:19], v[115:116]
	;; [unrolled: 1-line block ×4, first 2 shown]
	v_lshlrev_b64_e32 v[137:138], 4, v[157:158]
	v_lshlrev_b64_e32 v[139:140], 4, v[155:156]
	v_add_f64_e32 v[88:89], v[88:89], v[48:49]
	v_add_f64_e32 v[90:91], v[90:91], v[50:51]
	v_add_f64_e32 v[122:123], v[24:25], v[48:49]
	v_add_f64_e32 v[129:130], v[26:27], v[50:51]
	v_fma_f64 v[113:114], v[14:15], s[18:19], v[32:33]
	v_fma_f64 v[115:116], v[18:19], s[18:19], v[34:35]
	v_add_f64_e32 v[48:49], v[96:97], v[48:49]
	v_add_f64_e32 v[50:51], v[98:99], v[50:51]
	v_fma_f64 v[96:97], v[28:29], s[18:19], v[102:103]
	v_fma_f64 v[98:99], v[30:31], s[18:19], v[109:110]
	;; [unrolled: 1-line block ×6, first 2 shown]
	v_add_f64_e32 v[84:85], v[84:85], v[40:41]
	v_add_f64_e32 v[86:87], v[86:87], v[42:43]
	;; [unrolled: 1-line block ×6, first 2 shown]
	s_mov_b32 s2, 0xe8584caa
	s_mov_b32 s3, 0x3febb67a
	v_add_f64_e32 v[12:13], v[54:55], v[56:57]
	v_add_f64_e64 v[14:15], v[58:59], -v[52:53]
	v_add_f64_e64 v[32:33], v[56:57], -v[54:55]
	v_add_f64_e32 v[34:35], v[52:53], v[58:59]
	s_mov_b32 s7, 0xbfebb67a
	s_wait_alu 0xfffe
	s_mov_b32 s6, s2
	v_add_f64_e32 v[16:17], v[62:63], v[72:73]
	v_add_f64_e64 v[18:19], v[74:75], -v[60:61]
	v_add_f64_e64 v[20:21], v[44:45], -v[82:83]
	v_add_f64_e32 v[22:23], v[80:81], v[46:47]
	v_add_f64_e32 v[24:25], v[82:83], v[44:45]
	v_add_f64_e64 v[26:27], v[46:47], -v[80:81]
	v_add_f64_e64 v[28:29], v[72:73], -v[62:63]
	v_add_f64_e32 v[30:31], v[60:61], v[74:75]
	v_add_f64_e32 v[36:37], v[70:71], v[88:89]
	v_add_f64_e64 v[38:39], v[90:91], -v[68:69]
	v_add_f64_e32 v[40:41], v[66:67], v[122:123]
	v_add_f64_e64 v[42:43], v[129:130], -v[64:65]
	v_add_f64_e64 v[52:53], v[122:123], -v[66:67]
	v_add_f64_e32 v[54:55], v[64:65], v[129:130]
	v_add_f64_e64 v[44:45], v[48:49], -v[115:116]
	v_add_f64_e32 v[46:47], v[113:114], v[50:51]
	v_add_f64_e32 v[48:49], v[115:116], v[48:49]
	v_add_f64_e64 v[50:51], v[50:51], -v[113:114]
	v_add_f64_e64 v[56:57], v[88:89], -v[70:71]
	v_add_f64_e32 v[58:59], v[68:69], v[90:91]
	v_lshl_add_u32 v90, v108, 4, 0
	v_add_f64_e32 v[60:61], v[98:99], v[84:85]
	v_add_f64_e64 v[62:63], v[86:87], -v[96:97]
	v_add_f64_e32 v[64:65], v[135:136], v[76:77]
	v_add_f64_e64 v[66:67], v[78:79], -v[133:134]
	v_add_f64_e64 v[68:69], v[92:93], -v[109:110]
	v_add_f64_e32 v[70:71], v[102:103], v[94:95]
	v_add_f64_e32 v[72:73], v[109:110], v[92:93]
	v_add_f64_e64 v[74:75], v[94:95], -v[102:103]
	v_add_f64_e64 v[76:77], v[76:77], -v[135:136]
	v_add_f64_e32 v[78:79], v[133:134], v[78:79]
	v_add_f64_e64 v[80:81], v[84:85], -v[98:99]
	v_add_f64_e32 v[82:83], v[96:97], v[86:87]
	v_add_co_u32 v84, s1, s4, v118
	s_wait_alu 0xf1ff
	v_add_co_ci_u32_e64 v85, s1, s5, v119, s1
	v_add_co_u32 v86, s1, s4, v120
	s_wait_alu 0xf1ff
	v_add_co_ci_u32_e64 v87, s1, s5, v121, s1
	;; [unrolled: 3-line block ×3, first 2 shown]
	ds_store_b128 v132, v[8:11]
	ds_store_b128 v132, v[12:15] offset:832
	ds_store_b128 v132, v[16:19] offset:1664
	;; [unrolled: 1-line block ×20, first 2 shown]
	v_add_co_u32 v8, s1, s4, v139
	s_wait_alu 0xf1ff
	v_add_co_ci_u32_e64 v9, s1, s5, v140, s1
	global_wb scope:SCOPE_SE
	s_wait_dscnt 0x0
	s_barrier_signal -1
	s_barrier_wait -1
	global_inv scope:SCOPE_SE
	s_clause 0x9
	global_load_b128 v[0:3], v[100:101], off offset:5808
	global_load_b128 v[4:7], v[100:101], off offset:5792
	;; [unrolled: 1-line block ×10, first 2 shown]
	v_lshlrev_b64_e32 v[141:142], 4, v[153:154]
	v_lshlrev_b64_e32 v[143:144], 4, v[151:152]
	s_delay_alu instid0(VALU_DEP_2) | instskip(SKIP_1) | instid1(VALU_DEP_3)
	v_add_co_u32 v47, s1, s4, v141
	s_wait_alu 0xf1ff
	v_add_co_ci_u32_e64 v48, s1, s5, v142, s1
	s_delay_alu instid0(VALU_DEP_3)
	v_add_co_u32 v8, s1, s4, v143
	s_wait_alu 0xf1ff
	v_add_co_ci_u32_e64 v9, s1, s5, v144, s1
	s_clause 0x3
	global_load_b128 v[43:46], v[47:48], off offset:5792
	global_load_b128 v[47:50], v[47:48], off offset:5808
	;; [unrolled: 1-line block ×4, first 2 shown]
	scratch_load_b32 v8, off, off offset:104 th:TH_LOAD_LU ; 4-byte Folded Reload
	s_wait_loadcnt 0x0
	v_add_nc_u32_e32 v10, v8, v105
	ds_load_b128 v[59:62], v10
	ds_load_b128 v[63:66], v132 offset:11648
	ds_load_b128 v[67:70], v132 offset:6656
	;; [unrolled: 1-line block ×10, first 2 shown]
	ds_load_b128 v[108:111], v107
	ds_load_b128 v[113:116], v132 offset:10816
	ds_load_b128 v[133:136], v132 offset:15808
	;; [unrolled: 1-line block ×3, first 2 shown]
	v_lshl_add_u32 v105, v124, 4, 0
	s_wait_dscnt 0xe
	v_mul_f64_e32 v[8:9], v[61:62], v[6:7]
	v_mul_f64_e32 v[6:7], v[59:60], v[6:7]
	s_wait_dscnt 0xd
	v_mul_f64_e32 v[118:119], v[65:66], v[2:3]
	v_mul_f64_e32 v[2:3], v[63:64], v[2:3]
	;; [unrolled: 3-line block ×4, first 2 shown]
	s_wait_dscnt 0xa
	v_mul_f64_e32 v[129:130], v[77:78], v[25:26]
	s_wait_dscnt 0x9
	v_mul_f64_e32 v[141:142], v[81:82], v[21:22]
	v_mul_f64_e32 v[25:26], v[75:76], v[25:26]
	;; [unrolled: 1-line block ×3, first 2 shown]
	s_wait_dscnt 0x8
	v_mul_f64_e32 v[143:144], v[85:86], v[33:34]
	s_wait_dscnt 0x7
	v_mul_f64_e32 v[145:146], v[89:90], v[29:30]
	v_mul_f64_e32 v[33:34], v[83:84], v[33:34]
	;; [unrolled: 1-line block ×3, first 2 shown]
	s_wait_dscnt 0x5
	v_mul_f64_e32 v[147:148], v[97:98], v[41:42]
	v_mul_f64_e32 v[149:150], v[93:94], v[37:38]
	;; [unrolled: 1-line block ×4, first 2 shown]
	s_wait_dscnt 0x4
	v_mul_f64_e32 v[151:152], v[101:102], v[45:46]
	s_wait_dscnt 0x1
	v_mul_f64_e32 v[153:154], v[135:136], v[49:50]
	v_mul_f64_e32 v[45:46], v[99:100], v[45:46]
	;; [unrolled: 1-line block ×4, first 2 shown]
	s_wait_dscnt 0x0
	v_mul_f64_e32 v[157:158], v[139:140], v[57:58]
	v_mul_f64_e32 v[53:54], v[113:114], v[53:54]
	;; [unrolled: 1-line block ×3, first 2 shown]
	v_fma_f64 v[8:9], v[59:60], v[4:5], -v[8:9]
	v_fma_f64 v[59:60], v[61:62], v[4:5], v[6:7]
	scratch_load_b32 v4, off, off offset:100 th:TH_LOAD_LU ; 4-byte Folded Reload
	v_fma_f64 v[61:62], v[63:64], v[0:1], -v[118:119]
	v_fma_f64 v[63:64], v[65:66], v[0:1], v[2:3]
	v_fma_f64 v[65:66], v[67:68], v[15:16], -v[120:121]
	v_fma_f64 v[67:68], v[69:70], v[15:16], v[17:18]
	v_fma_f64 v[69:70], v[71:72], v[11:12], -v[122:123]
	v_fma_f64 v[71:72], v[73:74], v[11:12], v[13:14]
	v_fma_f64 v[73:74], v[75:76], v[23:24], -v[129:130]
	v_fma_f64 v[75:76], v[79:80], v[19:20], -v[141:142]
	v_fma_f64 v[77:78], v[77:78], v[23:24], v[25:26]
	v_fma_f64 v[79:80], v[81:82], v[19:20], v[21:22]
	v_fma_f64 v[81:82], v[83:84], v[31:32], -v[143:144]
	v_fma_f64 v[83:84], v[87:88], v[27:28], -v[145:146]
	v_fma_f64 v[31:32], v[85:86], v[31:32], v[33:34]
	v_fma_f64 v[28:29], v[89:90], v[27:28], v[29:30]
	;; [unrolled: 4-line block ×5, first 2 shown]
	ds_load_b128 v[0:3], v132
	ds_load_b128 v[16:19], v192
	;; [unrolled: 1-line block ×4, first 2 shown]
	v_add_f64_e32 v[55:56], v[8:9], v[61:62]
	v_add_f64_e32 v[57:58], v[59:60], v[63:64]
	v_add_f64_e64 v[101:102], v[59:60], -v[63:64]
	v_add_f64_e32 v[87:88], v[65:66], v[69:70]
	v_add_f64_e32 v[89:90], v[67:68], v[71:72]
	v_add_f64_e64 v[122:123], v[67:68], -v[71:72]
	v_add_f64_e32 v[91:92], v[73:74], v[75:76]
	s_wait_dscnt 0x3
	v_add_f64_e32 v[97:98], v[0:1], v[8:9]
	v_add_f64_e32 v[93:94], v[77:78], v[79:80]
	;; [unrolled: 1-line block ×4, first 2 shown]
	v_add_f64_e64 v[8:9], v[8:9], -v[61:62]
	v_add_f64_e32 v[99:100], v[31:32], v[28:29]
	s_wait_dscnt 0x2
	v_add_f64_e32 v[141:142], v[18:19], v[31:32]
	v_add_f64_e32 v[139:140], v[16:17], v[81:82]
	v_add_f64_e64 v[155:156], v[31:32], -v[28:29]
	v_add_f64_e32 v[113:114], v[39:40], v[35:36]
	v_add_f64_e64 v[81:82], v[81:82], -v[83:84]
	;; [unrolled: 2-line block ×3, first 2 shown]
	v_add_f64_e32 v[120:121], v[43:44], v[45:46]
	v_add_f64_e32 v[151:152], v[108:109], v[47:48]
	;; [unrolled: 1-line block ×5, first 2 shown]
	v_add_f64_e64 v[159:160], v[33:34], -v[85:86]
	v_add_f64_e64 v[161:162], v[43:44], -v[45:46]
	;; [unrolled: 1-line block ×5, first 2 shown]
	s_wait_dscnt 0x0
	v_add_f64_e32 v[135:136], v[12:13], v[73:74]
	v_add_f64_e32 v[137:138], v[14:15], v[77:78]
	v_add_f64_e64 v[77:78], v[77:78], -v[79:80]
	v_add_f64_e64 v[73:74], v[73:74], -v[75:76]
	v_fma_f64 v[55:56], v[55:56], -0.5, v[0:1]
	v_fma_f64 v[57:58], v[57:58], -0.5, v[2:3]
	;; [unrolled: 1-line block ×3, first 2 shown]
	v_add_f64_e32 v[0:1], v[97:98], v[61:62]
	v_fma_f64 v[93:94], v[93:94], -0.5, v[14:15]
	v_add_f64_e32 v[2:3], v[59:60], v[63:64]
	v_fma_f64 v[95:96], v[95:96], -0.5, v[16:17]
	v_fma_f64 v[99:100], v[99:100], -0.5, v[18:19]
	v_add_f64_e32 v[18:19], v[141:142], v[28:29]
	v_add_f64_e32 v[16:17], v[139:140], v[83:84]
	;; [unrolled: 1-line block ×3, first 2 shown]
	v_fma_f64 v[108:109], v[129:130], -0.5, v[108:109]
	v_add_f64_e32 v[30:31], v[153:154], v[53:54]
	v_fma_f64 v[110:111], v[133:134], -0.5, v[110:111]
	v_add_f64_e32 v[12:13], v[135:136], v[75:76]
	v_add_f64_e32 v[14:15], v[137:138], v[79:80]
	v_fma_f64 v[48:49], v[77:78], s[2:3], v[91:92]
	s_wait_alu 0xfffe
	v_fma_f64 v[52:53], v[77:78], s[6:7], v[91:92]
	v_fma_f64 v[50:51], v[73:74], s[6:7], v[93:94]
	;; [unrolled: 1-line block ×4, first 2 shown]
	s_wait_loadcnt 0x0
	v_add_nc_u32_e32 v11, v4, v104
	v_add_f64_e32 v[103:104], v[33:34], v[85:86]
	ds_load_b128 v[4:7], v194
	ds_load_b128 v[24:27], v11
	v_add_f64_e32 v[145:146], v[22:23], v[39:40]
	v_add_f64_e32 v[143:144], v[20:21], v[33:34]
	v_fma_f64 v[113:114], v[113:114], -0.5, v[22:23]
	v_fma_f64 v[32:33], v[101:102], s[2:3], v[55:56]
	global_wb scope:SCOPE_SE
	s_wait_dscnt 0x0
	s_barrier_signal -1
	s_barrier_wait -1
	global_inv scope:SCOPE_SE
	v_add_f64_e32 v[118:119], v[4:5], v[65:66]
	v_add_f64_e32 v[67:68], v[6:7], v[67:68]
	v_add_f64_e64 v[65:66], v[65:66], -v[69:70]
	v_add_f64_e32 v[147:148], v[24:25], v[37:38]
	v_fma_f64 v[87:88], v[87:88], -0.5, v[4:5]
	v_fma_f64 v[89:90], v[89:90], -0.5, v[6:7]
	v_add_f64_e32 v[149:150], v[26:27], v[43:44]
	v_fma_f64 v[115:116], v[115:116], -0.5, v[24:25]
	v_fma_f64 v[97:98], v[120:121], -0.5, v[26:27]
	v_fma_f64 v[38:39], v[8:9], s[2:3], v[57:58]
	v_fma_f64 v[103:104], v[103:104], -0.5, v[20:21]
	v_add_f64_e32 v[22:23], v[145:146], v[35:36]
	v_fma_f64 v[34:35], v[8:9], s[6:7], v[57:58]
	v_fma_f64 v[36:37], v[101:102], s[6:7], v[55:56]
	;; [unrolled: 1-line block ×5, first 2 shown]
	v_add_f64_e32 v[20:21], v[143:144], v[85:86]
	v_fma_f64 v[80:81], v[165:166], s[2:3], v[108:109]
	v_fma_f64 v[82:83], v[167:168], s[6:7], v[110:111]
	;; [unrolled: 1-line block ×3, first 2 shown]
                                        ; implicit-def: $vgpr8_vgpr9
	v_add_f64_e32 v[4:5], v[118:119], v[69:70]
	v_add_f64_e32 v[6:7], v[67:68], v[71:72]
	v_fma_f64 v[70:71], v[159:160], s[2:3], v[113:114]
	v_add_f64_e32 v[24:25], v[147:148], v[41:42]
	v_fma_f64 v[40:41], v[122:123], s[2:3], v[87:88]
	v_fma_f64 v[42:43], v[65:66], s[6:7], v[89:90]
	v_add_f64_e32 v[26:27], v[149:150], v[45:46]
	v_fma_f64 v[44:45], v[122:123], s[6:7], v[87:88]
	v_fma_f64 v[46:47], v[65:66], s[2:3], v[89:90]
	;; [unrolled: 1-line block ×10, first 2 shown]
	s_mov_b32 s2, exec_lo
	ds_store_b128 v132, v[0:3]
	ds_store_b128 v132, v[32:35] offset:5824
	ds_store_b128 v132, v[36:39] offset:11648
	ds_store_b128 v194, v[4:7]
	ds_store_b128 v194, v[40:43] offset:5824
	ds_store_b128 v194, v[44:47] offset:11648
	;; [unrolled: 3-line block ×7, first 2 shown]
	global_wb scope:SCOPE_SE
	s_wait_dscnt 0x0
	s_barrier_signal -1
	s_barrier_wait -1
	global_inv scope:SCOPE_SE
	ds_load_b128 v[4:7], v132
	v_lshlrev_b32_e32 v0, 4, v112
                                        ; implicit-def: $vgpr2_vgpr3
	s_delay_alu instid0(VALU_DEP_1)
	v_sub_nc_u32_e32 v12, 0, v0
	v_cmpx_ne_u32_e32 0, v112
	s_wait_alu 0xfffe
	s_xor_b32 s2, exec_lo, s2
	s_cbranch_execz .LBB0_25
; %bb.24:
	v_mov_b32_e32 v113, v128
	s_delay_alu instid0(VALU_DEP_1) | instskip(NEXT) | instid1(VALU_DEP_1)
	v_lshlrev_b64_e32 v[0:1], 4, v[112:113]
	v_add_co_u32 v0, s1, s4, v0
	s_wait_alu 0xf1ff
	s_delay_alu instid0(VALU_DEP_2)
	v_add_co_ci_u32_e64 v1, s1, s5, v1, s1
	global_load_b128 v[13:16], v[0:1], off offset:17440
	ds_load_b128 v[0:3], v12 offset:17472
	s_wait_dscnt 0x0
	v_add_f64_e64 v[8:9], v[4:5], -v[0:1]
	v_add_f64_e32 v[17:18], v[6:7], v[2:3]
	v_add_f64_e64 v[2:3], v[6:7], -v[2:3]
	v_add_f64_e32 v[0:1], v[4:5], v[0:1]
	s_delay_alu instid0(VALU_DEP_4) | instskip(NEXT) | instid1(VALU_DEP_4)
	v_mul_f64_e32 v[6:7], 0.5, v[8:9]
	v_mul_f64_e32 v[4:5], 0.5, v[17:18]
	s_delay_alu instid0(VALU_DEP_4) | instskip(SKIP_1) | instid1(VALU_DEP_3)
	v_mul_f64_e32 v[2:3], 0.5, v[2:3]
	s_wait_loadcnt 0x0
	v_mul_f64_e32 v[8:9], v[6:7], v[15:16]
	s_delay_alu instid0(VALU_DEP_2) | instskip(SKIP_1) | instid1(VALU_DEP_3)
	v_fma_f64 v[17:18], v[4:5], v[15:16], v[2:3]
	v_fma_f64 v[2:3], v[4:5], v[15:16], -v[2:3]
	v_fma_f64 v[19:20], v[0:1], 0.5, v[8:9]
	v_fma_f64 v[0:1], v[0:1], 0.5, -v[8:9]
	s_delay_alu instid0(VALU_DEP_4) | instskip(NEXT) | instid1(VALU_DEP_4)
	v_fma_f64 v[8:9], -v[13:14], v[6:7], v[17:18]
	v_fma_f64 v[2:3], -v[13:14], v[6:7], v[2:3]
	s_delay_alu instid0(VALU_DEP_4) | instskip(NEXT) | instid1(VALU_DEP_4)
	v_fma_f64 v[15:16], v[4:5], v[13:14], v[19:20]
	v_fma_f64 v[0:1], -v[4:5], v[13:14], v[0:1]
                                        ; implicit-def: $vgpr4_vgpr5
	ds_store_b64 v132, v[15:16]
.LBB0_25:
	s_wait_alu 0xfffe
	s_or_saveexec_b32 s1, s2
	scratch_load_b32 v13, off, off offset:96 th:TH_LOAD_LU ; 4-byte Folded Reload
	s_wait_loadcnt 0x0
	v_sub_nc_u32_e32 v13, 0, v13
	s_wait_alu 0xfffe
	s_xor_b32 exec_lo, exec_lo, s1
	s_cbranch_execz .LBB0_27
; %bb.26:
	s_wait_dscnt 0x0
	v_add_f64_e32 v[14:15], v[4:5], v[6:7]
	v_add_f64_e64 v[0:1], v[4:5], -v[6:7]
	v_mov_b32_e32 v6, 0
	v_mov_b32_e32 v8, 0
	;; [unrolled: 1-line block ×3, first 2 shown]
	s_delay_alu instid0(VALU_DEP_2)
	v_mov_b32_e32 v2, v8
	ds_load_b64 v[4:5], v6 offset:8744
	v_mov_b32_e32 v3, v9
	s_wait_dscnt 0x0
	v_xor_b32_e32 v5, 0x80000000, v5
	ds_store_b64 v132, v[14:15]
	ds_store_b64 v6, v[4:5] offset:8744
.LBB0_27:
	s_or_b32 exec_lo, exec_lo, s1
	v_mov_b32_e32 v118, 0
	s_delay_alu instid0(VALU_DEP_1) | instskip(SKIP_2) | instid1(VALU_DEP_2)
	v_mov_b32_e32 v127, v118
	s_wait_dscnt 0x0
	v_lshlrev_b64_e32 v[4:5], 4, v[117:118]
	v_lshlrev_b64_e32 v[14:15], 4, v[126:127]
	v_mov_b32_e32 v126, v118
	s_delay_alu instid0(VALU_DEP_3) | instskip(SKIP_1) | instid1(VALU_DEP_4)
	v_add_co_u32 v4, s1, s4, v4
	s_wait_alu 0xf1ff
	v_add_co_ci_u32_e64 v5, s1, s5, v5, s1
	s_delay_alu instid0(VALU_DEP_4)
	v_add_co_u32 v14, s1, s4, v14
	s_wait_alu 0xf1ff
	v_add_co_ci_u32_e64 v15, s1, s5, v15, s1
	s_clause 0x1
	global_load_b128 v[4:7], v[4:5], off offset:17440
	global_load_b128 v[14:17], v[14:15], off offset:17440
	ds_store_b64 v132, v[8:9] offset:8
	ds_store_b128 v12, v[0:3] offset:17472
	scratch_load_b32 v26, off, off offset:92 th:TH_LOAD_LU ; 4-byte Folded Reload
	s_wait_loadcnt 0x0
	ds_load_b128 v[0:3], v26
	ds_load_b128 v[18:21], v12 offset:16640
	s_wait_dscnt 0x0
	v_add_f64_e64 v[8:9], v[0:1], -v[18:19]
	v_add_f64_e32 v[22:23], v[2:3], v[20:21]
	v_add_f64_e64 v[2:3], v[2:3], -v[20:21]
	v_add_f64_e32 v[0:1], v[0:1], v[18:19]
	s_delay_alu instid0(VALU_DEP_4) | instskip(NEXT) | instid1(VALU_DEP_4)
	v_mul_f64_e32 v[8:9], 0.5, v[8:9]
	v_mul_f64_e32 v[20:21], 0.5, v[22:23]
	s_delay_alu instid0(VALU_DEP_4) | instskip(NEXT) | instid1(VALU_DEP_3)
	v_mul_f64_e32 v[2:3], 0.5, v[2:3]
	v_mul_f64_e32 v[18:19], v[8:9], v[6:7]
	s_delay_alu instid0(VALU_DEP_2) | instskip(SKIP_1) | instid1(VALU_DEP_3)
	v_fma_f64 v[22:23], v[20:21], v[6:7], v[2:3]
	v_fma_f64 v[6:7], v[20:21], v[6:7], -v[2:3]
	v_fma_f64 v[24:25], v[0:1], 0.5, v[18:19]
	v_fma_f64 v[18:19], v[0:1], 0.5, -v[18:19]
	s_delay_alu instid0(VALU_DEP_4) | instskip(NEXT) | instid1(VALU_DEP_4)
	v_fma_f64 v[2:3], -v[4:5], v[8:9], v[22:23]
	v_fma_f64 v[6:7], -v[4:5], v[8:9], v[6:7]
	v_lshlrev_b64_e32 v[8:9], 4, v[125:126]
	v_mov_b32_e32 v125, v118
	s_delay_alu instid0(VALU_DEP_2) | instskip(SKIP_1) | instid1(VALU_DEP_3)
	v_add_co_u32 v8, s1, s4, v8
	s_wait_alu 0xf1ff
	v_add_co_ci_u32_e64 v9, s1, s5, v9, s1
	v_fma_f64 v[0:1], v[20:21], v[4:5], v[24:25]
	v_fma_f64 v[4:5], -v[20:21], v[4:5], v[18:19]
	global_load_b128 v[18:21], v[8:9], off offset:17440
	ds_store_b128 v26, v[0:3]
	ds_store_b128 v12, v[4:7] offset:16640
	scratch_load_b32 v26, off, off offset:88 th:TH_LOAD_LU ; 4-byte Folded Reload
	s_wait_loadcnt 0x0
	ds_load_b128 v[0:3], v26
	ds_load_b128 v[4:7], v12 offset:15808
	s_wait_dscnt 0x0
	v_add_f64_e64 v[8:9], v[0:1], -v[4:5]
	v_add_f64_e32 v[22:23], v[2:3], v[6:7]
	v_add_f64_e64 v[2:3], v[2:3], -v[6:7]
	v_add_f64_e32 v[0:1], v[0:1], v[4:5]
	s_delay_alu instid0(VALU_DEP_4) | instskip(NEXT) | instid1(VALU_DEP_4)
	v_mul_f64_e32 v[6:7], 0.5, v[8:9]
	v_mul_f64_e32 v[8:9], 0.5, v[22:23]
	s_delay_alu instid0(VALU_DEP_4) | instskip(NEXT) | instid1(VALU_DEP_3)
	v_mul_f64_e32 v[2:3], 0.5, v[2:3]
	v_mul_f64_e32 v[4:5], v[6:7], v[16:17]
	s_delay_alu instid0(VALU_DEP_2) | instskip(SKIP_1) | instid1(VALU_DEP_3)
	v_fma_f64 v[22:23], v[8:9], v[16:17], v[2:3]
	v_fma_f64 v[16:17], v[8:9], v[16:17], -v[2:3]
	v_fma_f64 v[24:25], v[0:1], 0.5, v[4:5]
	v_fma_f64 v[4:5], v[0:1], 0.5, -v[4:5]
	s_delay_alu instid0(VALU_DEP_4) | instskip(NEXT) | instid1(VALU_DEP_4)
	v_fma_f64 v[2:3], -v[14:15], v[6:7], v[22:23]
	v_fma_f64 v[6:7], -v[14:15], v[6:7], v[16:17]
	s_delay_alu instid0(VALU_DEP_4) | instskip(NEXT) | instid1(VALU_DEP_4)
	v_fma_f64 v[0:1], v[8:9], v[14:15], v[24:25]
	v_fma_f64 v[4:5], -v[8:9], v[14:15], v[4:5]
	v_lshlrev_b64_e32 v[8:9], 4, v[124:125]
	s_delay_alu instid0(VALU_DEP_1) | instskip(SKIP_1) | instid1(VALU_DEP_2)
	v_add_co_u32 v8, s1, s4, v8
	s_wait_alu 0xf1ff
	v_add_co_ci_u32_e64 v9, s1, s5, v9, s1
	global_load_b128 v[14:17], v[8:9], off offset:17440
	ds_store_b128 v26, v[0:3]
	ds_store_b128 v12, v[4:7] offset:15808
	scratch_load_b32 v26, off, off offset:84 th:TH_LOAD_LU ; 4-byte Folded Reload
	s_wait_loadcnt 0x0
	ds_load_b128 v[0:3], v26
	ds_load_b128 v[4:7], v12 offset:14976
	s_wait_dscnt 0x0
	v_add_f64_e64 v[8:9], v[0:1], -v[4:5]
	v_add_f64_e32 v[22:23], v[2:3], v[6:7]
	v_add_f64_e64 v[2:3], v[2:3], -v[6:7]
	v_add_f64_e32 v[0:1], v[0:1], v[4:5]
	s_delay_alu instid0(VALU_DEP_4) | instskip(NEXT) | instid1(VALU_DEP_4)
	v_mul_f64_e32 v[6:7], 0.5, v[8:9]
	v_mul_f64_e32 v[8:9], 0.5, v[22:23]
	s_delay_alu instid0(VALU_DEP_4) | instskip(NEXT) | instid1(VALU_DEP_3)
	v_mul_f64_e32 v[2:3], 0.5, v[2:3]
	v_mul_f64_e32 v[4:5], v[6:7], v[20:21]
	s_delay_alu instid0(VALU_DEP_2) | instskip(SKIP_1) | instid1(VALU_DEP_3)
	v_fma_f64 v[22:23], v[8:9], v[20:21], v[2:3]
	v_fma_f64 v[20:21], v[8:9], v[20:21], -v[2:3]
	v_fma_f64 v[24:25], v[0:1], 0.5, v[4:5]
	v_fma_f64 v[4:5], v[0:1], 0.5, -v[4:5]
	s_delay_alu instid0(VALU_DEP_4) | instskip(NEXT) | instid1(VALU_DEP_4)
	v_fma_f64 v[2:3], -v[18:19], v[6:7], v[22:23]
	v_fma_f64 v[6:7], -v[18:19], v[6:7], v[20:21]
	s_delay_alu instid0(VALU_DEP_4) | instskip(NEXT) | instid1(VALU_DEP_4)
	v_fma_f64 v[0:1], v[8:9], v[18:19], v[24:25]
	v_fma_f64 v[4:5], -v[8:9], v[18:19], v[4:5]
	scratch_load_b64 v[8:9], off, off offset:32 th:TH_LOAD_LU ; 8-byte Folded Reload
	s_wait_loadcnt 0x0
	v_mov_b32_e32 v9, v118
	s_delay_alu instid0(VALU_DEP_1) | instskip(NEXT) | instid1(VALU_DEP_1)
	v_lshlrev_b64_e32 v[8:9], 4, v[8:9]
	v_add_co_u32 v8, s1, s4, v8
	s_wait_alu 0xf1ff
	s_delay_alu instid0(VALU_DEP_2)
	v_add_co_ci_u32_e64 v9, s1, s5, v9, s1
	global_load_b128 v[18:21], v[8:9], off offset:17440
	ds_store_b128 v26, v[0:3]
	ds_store_b128 v12, v[4:7] offset:14976
	scratch_load_b32 v26, off, off offset:80 th:TH_LOAD_LU ; 4-byte Folded Reload
	s_wait_loadcnt 0x0
	ds_load_b128 v[0:3], v26
	ds_load_b128 v[4:7], v12 offset:14144
	s_wait_dscnt 0x0
	v_add_f64_e64 v[8:9], v[0:1], -v[4:5]
	v_add_f64_e32 v[22:23], v[2:3], v[6:7]
	v_add_f64_e64 v[2:3], v[2:3], -v[6:7]
	v_add_f64_e32 v[0:1], v[0:1], v[4:5]
	s_delay_alu instid0(VALU_DEP_4) | instskip(NEXT) | instid1(VALU_DEP_4)
	v_mul_f64_e32 v[6:7], 0.5, v[8:9]
	v_mul_f64_e32 v[8:9], 0.5, v[22:23]
	s_delay_alu instid0(VALU_DEP_4) | instskip(NEXT) | instid1(VALU_DEP_3)
	v_mul_f64_e32 v[2:3], 0.5, v[2:3]
	v_mul_f64_e32 v[4:5], v[6:7], v[16:17]
	s_delay_alu instid0(VALU_DEP_2) | instskip(SKIP_1) | instid1(VALU_DEP_3)
	v_fma_f64 v[22:23], v[8:9], v[16:17], v[2:3]
	v_fma_f64 v[16:17], v[8:9], v[16:17], -v[2:3]
	v_fma_f64 v[24:25], v[0:1], 0.5, v[4:5]
	v_fma_f64 v[4:5], v[0:1], 0.5, -v[4:5]
	s_delay_alu instid0(VALU_DEP_4) | instskip(NEXT) | instid1(VALU_DEP_4)
	v_fma_f64 v[2:3], -v[14:15], v[6:7], v[22:23]
	v_fma_f64 v[6:7], -v[14:15], v[6:7], v[16:17]
	s_delay_alu instid0(VALU_DEP_4) | instskip(NEXT) | instid1(VALU_DEP_4)
	v_fma_f64 v[0:1], v[8:9], v[14:15], v[24:25]
	v_fma_f64 v[4:5], -v[8:9], v[14:15], v[4:5]
	scratch_load_b64 v[8:9], off, off offset:24 th:TH_LOAD_LU ; 8-byte Folded Reload
	s_wait_loadcnt 0x0
	v_mov_b32_e32 v9, v118
	s_delay_alu instid0(VALU_DEP_1) | instskip(NEXT) | instid1(VALU_DEP_1)
	v_lshlrev_b64_e32 v[8:9], 4, v[8:9]
	v_add_co_u32 v8, s1, s4, v8
	s_wait_alu 0xf1ff
	s_delay_alu instid0(VALU_DEP_2)
	v_add_co_ci_u32_e64 v9, s1, s5, v9, s1
	global_load_b128 v[14:17], v[8:9], off offset:17440
	ds_store_b128 v26, v[0:3]
	ds_store_b128 v12, v[4:7] offset:14144
	ds_load_b128 v[0:3], v11
	ds_load_b128 v[4:7], v12 offset:13312
	s_wait_dscnt 0x0
	v_add_f64_e64 v[8:9], v[0:1], -v[4:5]
	v_add_f64_e32 v[22:23], v[2:3], v[6:7]
	v_add_f64_e64 v[2:3], v[2:3], -v[6:7]
	v_add_f64_e32 v[0:1], v[0:1], v[4:5]
	s_delay_alu instid0(VALU_DEP_4) | instskip(NEXT) | instid1(VALU_DEP_4)
	v_mul_f64_e32 v[6:7], 0.5, v[8:9]
	v_mul_f64_e32 v[8:9], 0.5, v[22:23]
	s_delay_alu instid0(VALU_DEP_4) | instskip(NEXT) | instid1(VALU_DEP_3)
	v_mul_f64_e32 v[2:3], 0.5, v[2:3]
	v_mul_f64_e32 v[4:5], v[6:7], v[20:21]
	s_delay_alu instid0(VALU_DEP_2) | instskip(SKIP_1) | instid1(VALU_DEP_3)
	v_fma_f64 v[22:23], v[8:9], v[20:21], v[2:3]
	v_fma_f64 v[20:21], v[8:9], v[20:21], -v[2:3]
	v_fma_f64 v[24:25], v[0:1], 0.5, v[4:5]
	v_fma_f64 v[4:5], v[0:1], 0.5, -v[4:5]
	s_delay_alu instid0(VALU_DEP_4) | instskip(NEXT) | instid1(VALU_DEP_4)
	v_fma_f64 v[2:3], -v[18:19], v[6:7], v[22:23]
	v_fma_f64 v[6:7], -v[18:19], v[6:7], v[20:21]
	s_delay_alu instid0(VALU_DEP_4) | instskip(NEXT) | instid1(VALU_DEP_4)
	v_fma_f64 v[0:1], v[8:9], v[18:19], v[24:25]
	v_fma_f64 v[4:5], -v[8:9], v[18:19], v[4:5]
	scratch_load_b64 v[8:9], off, off offset:16 th:TH_LOAD_LU ; 8-byte Folded Reload
	s_wait_loadcnt 0x0
	v_mov_b32_e32 v9, v118
	s_delay_alu instid0(VALU_DEP_1) | instskip(NEXT) | instid1(VALU_DEP_1)
	v_lshlrev_b64_e32 v[8:9], 4, v[8:9]
	v_add_co_u32 v8, s1, s4, v8
	s_wait_alu 0xf1ff
	s_delay_alu instid0(VALU_DEP_2)
	v_add_co_ci_u32_e64 v9, s1, s5, v9, s1
	global_load_b128 v[18:21], v[8:9], off offset:17440
	ds_store_b128 v11, v[0:3]
	ds_store_b128 v12, v[4:7] offset:13312
	;; [unrolled: 36-line block ×3, first 2 shown]
	ds_load_b128 v[0:3], v10
	ds_load_b128 v[4:7], v12 offset:11648
	s_wait_dscnt 0x0
	v_add_f64_e64 v[8:9], v[0:1], -v[4:5]
	v_add_f64_e32 v[22:23], v[2:3], v[6:7]
	v_add_f64_e64 v[2:3], v[2:3], -v[6:7]
	v_add_f64_e32 v[0:1], v[0:1], v[4:5]
	s_delay_alu instid0(VALU_DEP_4) | instskip(NEXT) | instid1(VALU_DEP_4)
	v_mul_f64_e32 v[6:7], 0.5, v[8:9]
	v_mul_f64_e32 v[8:9], 0.5, v[22:23]
	s_delay_alu instid0(VALU_DEP_4) | instskip(NEXT) | instid1(VALU_DEP_3)
	v_mul_f64_e32 v[2:3], 0.5, v[2:3]
	v_mul_f64_e32 v[4:5], v[6:7], v[20:21]
	s_delay_alu instid0(VALU_DEP_2) | instskip(SKIP_1) | instid1(VALU_DEP_3)
	v_fma_f64 v[22:23], v[8:9], v[20:21], v[2:3]
	v_fma_f64 v[20:21], v[8:9], v[20:21], -v[2:3]
	v_fma_f64 v[24:25], v[0:1], 0.5, v[4:5]
	v_fma_f64 v[4:5], v[0:1], 0.5, -v[4:5]
	s_delay_alu instid0(VALU_DEP_4) | instskip(NEXT) | instid1(VALU_DEP_4)
	v_fma_f64 v[2:3], -v[18:19], v[6:7], v[22:23]
	v_fma_f64 v[6:7], -v[18:19], v[6:7], v[20:21]
	s_delay_alu instid0(VALU_DEP_4) | instskip(NEXT) | instid1(VALU_DEP_4)
	v_fma_f64 v[0:1], v[8:9], v[18:19], v[24:25]
	v_fma_f64 v[4:5], -v[8:9], v[18:19], v[4:5]
	scratch_load_b64 v[8:9], off, off th:TH_LOAD_LU ; 8-byte Folded Reload
	s_wait_loadcnt 0x0
	v_mov_b32_e32 v9, v118
	s_delay_alu instid0(VALU_DEP_1) | instskip(NEXT) | instid1(VALU_DEP_1)
	v_lshlrev_b64_e32 v[8:9], 4, v[8:9]
	v_add_co_u32 v8, s1, s4, v8
	s_wait_alu 0xf1ff
	s_delay_alu instid0(VALU_DEP_2)
	v_add_co_ci_u32_e64 v9, s1, s5, v9, s1
	global_load_b128 v[18:21], v[8:9], off offset:17440
	scratch_load_b32 v8, off, off offset:48 th:TH_LOAD_LU ; 4-byte Folded Reload
	ds_store_b128 v10, v[0:3]
	ds_store_b128 v12, v[4:7] offset:11648
	s_wait_loadcnt 0x0
	v_add_nc_u32_e32 v13, v8, v13
	ds_load_b128 v[0:3], v13
	ds_load_b128 v[4:7], v12 offset:10816
	s_wait_dscnt 0x0
	v_add_f64_e64 v[8:9], v[0:1], -v[4:5]
	v_add_f64_e32 v[10:11], v[2:3], v[6:7]
	v_add_f64_e64 v[2:3], v[2:3], -v[6:7]
	v_add_f64_e32 v[0:1], v[0:1], v[4:5]
	s_delay_alu instid0(VALU_DEP_4) | instskip(NEXT) | instid1(VALU_DEP_4)
	v_mul_f64_e32 v[6:7], 0.5, v[8:9]
	v_mul_f64_e32 v[8:9], 0.5, v[10:11]
	s_delay_alu instid0(VALU_DEP_4) | instskip(NEXT) | instid1(VALU_DEP_3)
	v_mul_f64_e32 v[2:3], 0.5, v[2:3]
	v_mul_f64_e32 v[4:5], v[6:7], v[16:17]
	s_delay_alu instid0(VALU_DEP_2) | instskip(SKIP_1) | instid1(VALU_DEP_3)
	v_fma_f64 v[10:11], v[8:9], v[16:17], v[2:3]
	v_fma_f64 v[16:17], v[8:9], v[16:17], -v[2:3]
	v_fma_f64 v[22:23], v[0:1], 0.5, v[4:5]
	v_fma_f64 v[4:5], v[0:1], 0.5, -v[4:5]
	s_delay_alu instid0(VALU_DEP_4) | instskip(NEXT) | instid1(VALU_DEP_4)
	v_fma_f64 v[2:3], -v[14:15], v[6:7], v[10:11]
	v_fma_f64 v[6:7], -v[14:15], v[6:7], v[16:17]
	s_delay_alu instid0(VALU_DEP_4) | instskip(NEXT) | instid1(VALU_DEP_4)
	v_fma_f64 v[0:1], v[8:9], v[14:15], v[22:23]
	v_fma_f64 v[4:5], -v[8:9], v[14:15], v[4:5]
	ds_store_b128 v13, v[0:3]
	ds_store_b128 v12, v[4:7] offset:10816
	ds_load_b128 v[0:3], v106
	ds_load_b128 v[4:7], v12 offset:9984
	s_wait_dscnt 0x0
	v_add_f64_e64 v[8:9], v[0:1], -v[4:5]
	v_add_f64_e32 v[10:11], v[2:3], v[6:7]
	v_add_f64_e64 v[2:3], v[2:3], -v[6:7]
	v_add_f64_e32 v[0:1], v[0:1], v[4:5]
	s_delay_alu instid0(VALU_DEP_4) | instskip(NEXT) | instid1(VALU_DEP_4)
	v_mul_f64_e32 v[6:7], 0.5, v[8:9]
	v_mul_f64_e32 v[8:9], 0.5, v[10:11]
	s_delay_alu instid0(VALU_DEP_4) | instskip(NEXT) | instid1(VALU_DEP_3)
	v_mul_f64_e32 v[2:3], 0.5, v[2:3]
	v_mul_f64_e32 v[4:5], v[6:7], v[20:21]
	s_delay_alu instid0(VALU_DEP_2) | instskip(SKIP_1) | instid1(VALU_DEP_3)
	v_fma_f64 v[10:11], v[8:9], v[20:21], v[2:3]
	v_fma_f64 v[13:14], v[8:9], v[20:21], -v[2:3]
	v_fma_f64 v[15:16], v[0:1], 0.5, v[4:5]
	v_fma_f64 v[4:5], v[0:1], 0.5, -v[4:5]
	s_delay_alu instid0(VALU_DEP_4) | instskip(NEXT) | instid1(VALU_DEP_4)
	v_fma_f64 v[2:3], -v[18:19], v[6:7], v[10:11]
	v_fma_f64 v[6:7], -v[18:19], v[6:7], v[13:14]
	s_delay_alu instid0(VALU_DEP_4) | instskip(NEXT) | instid1(VALU_DEP_4)
	v_fma_f64 v[0:1], v[8:9], v[18:19], v[15:16]
	v_fma_f64 v[4:5], -v[8:9], v[18:19], v[4:5]
	ds_store_b128 v106, v[0:3]
	ds_store_b128 v12, v[4:7] offset:9984
	s_and_saveexec_b32 s1, s0
	s_cbranch_execz .LBB0_29
; %bb.28:
	scratch_load_b64 v[0:1], off, off offset:40 th:TH_LOAD_LU ; 8-byte Folded Reload
	s_wait_loadcnt 0x0
	v_mov_b32_e32 v117, v0
	s_delay_alu instid0(VALU_DEP_1) | instskip(NEXT) | instid1(VALU_DEP_1)
	v_lshlrev_b64_e32 v[0:1], 4, v[117:118]
	v_add_co_u32 v0, s0, s4, v0
	s_wait_alu 0xf1ff
	s_delay_alu instid0(VALU_DEP_2)
	v_add_co_ci_u32_e64 v1, s0, s5, v1, s0
	global_load_b128 v[0:3], v[0:1], off offset:17440
	scratch_load_b32 v19, off, off offset:76 th:TH_LOAD_LU ; 4-byte Folded Reload
	s_wait_loadcnt 0x0
	ds_load_b128 v[4:7], v19
	ds_load_b128 v[8:11], v12 offset:9152
	s_wait_dscnt 0x0
	v_add_f64_e64 v[13:14], v[4:5], -v[8:9]
	v_add_f64_e32 v[15:16], v[6:7], v[10:11]
	v_add_f64_e64 v[6:7], v[6:7], -v[10:11]
	v_add_f64_e32 v[4:5], v[4:5], v[8:9]
	s_delay_alu instid0(VALU_DEP_4) | instskip(NEXT) | instid1(VALU_DEP_4)
	v_mul_f64_e32 v[10:11], 0.5, v[13:14]
	v_mul_f64_e32 v[13:14], 0.5, v[15:16]
	s_delay_alu instid0(VALU_DEP_4) | instskip(NEXT) | instid1(VALU_DEP_3)
	v_mul_f64_e32 v[6:7], 0.5, v[6:7]
	v_mul_f64_e32 v[8:9], v[10:11], v[2:3]
	s_delay_alu instid0(VALU_DEP_2) | instskip(SKIP_1) | instid1(VALU_DEP_3)
	v_fma_f64 v[15:16], v[13:14], v[2:3], v[6:7]
	v_fma_f64 v[2:3], v[13:14], v[2:3], -v[6:7]
	v_fma_f64 v[6:7], v[4:5], 0.5, v[8:9]
	v_fma_f64 v[17:18], v[4:5], 0.5, -v[8:9]
	s_delay_alu instid0(VALU_DEP_4) | instskip(NEXT) | instid1(VALU_DEP_4)
	v_fma_f64 v[4:5], -v[0:1], v[10:11], v[15:16]
	v_fma_f64 v[8:9], -v[0:1], v[10:11], v[2:3]
	s_delay_alu instid0(VALU_DEP_4) | instskip(NEXT) | instid1(VALU_DEP_4)
	v_fma_f64 v[2:3], v[13:14], v[0:1], v[6:7]
	v_fma_f64 v[6:7], -v[13:14], v[0:1], v[17:18]
	ds_store_b128 v19, v[2:5]
	ds_store_b128 v12, v[6:9] offset:9152
.LBB0_29:
	s_wait_alu 0xfffe
	s_or_b32 exec_lo, exec_lo, s1
	global_wb scope:SCOPE_SE
	s_wait_dscnt 0x0
	s_barrier_signal -1
	s_barrier_wait -1
	global_inv scope:SCOPE_SE
	s_and_saveexec_b32 s0, vcc_lo
	s_cbranch_execz .LBB0_32
; %bb.30:
	scratch_load_b64 v[0:1], off, off offset:68 th:TH_LOAD_LU ; 8-byte Folded Reload
	ds_load_b128 v[2:5], v132
	ds_load_b128 v[6:9], v132 offset:832
	v_mov_b32_e32 v113, 0
	s_delay_alu instid0(VALU_DEP_1) | instskip(SKIP_4) | instid1(VALU_DEP_2)
	v_lshlrev_b64_e32 v[10:11], 4, v[112:113]
	s_wait_loadcnt 0x0
	v_add_co_u32 v0, vcc_lo, s8, v0
	s_wait_alu 0xfffd
	v_add_co_ci_u32_e32 v1, vcc_lo, s9, v1, vcc_lo
	v_add_co_u32 v78, vcc_lo, v0, v10
	s_wait_alu 0xfffd
	s_delay_alu instid0(VALU_DEP_2)
	v_add_co_ci_u32_e32 v79, vcc_lo, v1, v11, vcc_lo
	ds_load_b128 v[10:13], v132 offset:1664
	ds_load_b128 v[14:17], v132 offset:2496
	;; [unrolled: 1-line block ×14, first 2 shown]
	v_cmp_eq_u32_e32 vcc_lo, 51, v112
	s_wait_dscnt 0xf
	global_store_b128 v[78:79], v[2:5], off
	s_wait_dscnt 0xe
	global_store_b128 v[78:79], v[6:9], off offset:832
	ds_load_b128 v[2:5], v132 offset:13312
	ds_load_b128 v[6:9], v132 offset:14144
	;; [unrolled: 1-line block ×5, first 2 shown]
	s_wait_dscnt 0x12
	global_store_b128 v[78:79], v[10:13], off offset:1664
	s_wait_dscnt 0x11
	global_store_b128 v[78:79], v[14:17], off offset:2496
	;; [unrolled: 2-line block ×19, first 2 shown]
	s_and_b32 exec_lo, exec_lo, vcc_lo
	s_cbranch_execz .LBB0_32
; %bb.31:
	ds_load_b128 v[2:5], v113 offset:17472
	s_wait_dscnt 0x0
	global_store_b128 v[0:1], v[2:5], off offset:17472
.LBB0_32:
	s_nop 0
	s_sendmsg sendmsg(MSG_DEALLOC_VGPRS)
	s_endpgm
	.section	.rodata,"a",@progbits
	.p2align	6, 0x0
	.amdhsa_kernel fft_rtc_fwd_len1092_factors_2_2_13_7_3_wgs_52_tpt_52_halfLds_dp_ip_CI_unitstride_sbrr_R2C_dirReg
		.amdhsa_group_segment_fixed_size 0
		.amdhsa_private_segment_fixed_size 176
		.amdhsa_kernarg_size 88
		.amdhsa_user_sgpr_count 2
		.amdhsa_user_sgpr_dispatch_ptr 0
		.amdhsa_user_sgpr_queue_ptr 0
		.amdhsa_user_sgpr_kernarg_segment_ptr 1
		.amdhsa_user_sgpr_dispatch_id 0
		.amdhsa_user_sgpr_private_segment_size 0
		.amdhsa_wavefront_size32 1
		.amdhsa_uses_dynamic_stack 0
		.amdhsa_enable_private_segment 1
		.amdhsa_system_sgpr_workgroup_id_x 1
		.amdhsa_system_sgpr_workgroup_id_y 0
		.amdhsa_system_sgpr_workgroup_id_z 0
		.amdhsa_system_sgpr_workgroup_info 0
		.amdhsa_system_vgpr_workitem_id 0
		.amdhsa_next_free_vgpr 256
		.amdhsa_next_free_sgpr 44
		.amdhsa_reserve_vcc 1
		.amdhsa_float_round_mode_32 0
		.amdhsa_float_round_mode_16_64 0
		.amdhsa_float_denorm_mode_32 3
		.amdhsa_float_denorm_mode_16_64 3
		.amdhsa_fp16_overflow 0
		.amdhsa_workgroup_processor_mode 1
		.amdhsa_memory_ordered 1
		.amdhsa_forward_progress 0
		.amdhsa_round_robin_scheduling 0
		.amdhsa_exception_fp_ieee_invalid_op 0
		.amdhsa_exception_fp_denorm_src 0
		.amdhsa_exception_fp_ieee_div_zero 0
		.amdhsa_exception_fp_ieee_overflow 0
		.amdhsa_exception_fp_ieee_underflow 0
		.amdhsa_exception_fp_ieee_inexact 0
		.amdhsa_exception_int_div_zero 0
	.end_amdhsa_kernel
	.text
.Lfunc_end0:
	.size	fft_rtc_fwd_len1092_factors_2_2_13_7_3_wgs_52_tpt_52_halfLds_dp_ip_CI_unitstride_sbrr_R2C_dirReg, .Lfunc_end0-fft_rtc_fwd_len1092_factors_2_2_13_7_3_wgs_52_tpt_52_halfLds_dp_ip_CI_unitstride_sbrr_R2C_dirReg
                                        ; -- End function
	.section	.AMDGPU.csdata,"",@progbits
; Kernel info:
; codeLenInByte = 20424
; NumSgprs: 46
; NumVgprs: 256
; ScratchSize: 176
; MemoryBound: 0
; FloatMode: 240
; IeeeMode: 1
; LDSByteSize: 0 bytes/workgroup (compile time only)
; SGPRBlocks: 5
; VGPRBlocks: 31
; NumSGPRsForWavesPerEU: 46
; NumVGPRsForWavesPerEU: 256
; Occupancy: 5
; WaveLimiterHint : 1
; COMPUTE_PGM_RSRC2:SCRATCH_EN: 1
; COMPUTE_PGM_RSRC2:USER_SGPR: 2
; COMPUTE_PGM_RSRC2:TRAP_HANDLER: 0
; COMPUTE_PGM_RSRC2:TGID_X_EN: 1
; COMPUTE_PGM_RSRC2:TGID_Y_EN: 0
; COMPUTE_PGM_RSRC2:TGID_Z_EN: 0
; COMPUTE_PGM_RSRC2:TIDIG_COMP_CNT: 0
	.text
	.p2alignl 7, 3214868480
	.fill 96, 4, 3214868480
	.type	__hip_cuid_a37cd347695de6d2,@object ; @__hip_cuid_a37cd347695de6d2
	.section	.bss,"aw",@nobits
	.globl	__hip_cuid_a37cd347695de6d2
__hip_cuid_a37cd347695de6d2:
	.byte	0                               ; 0x0
	.size	__hip_cuid_a37cd347695de6d2, 1

	.ident	"AMD clang version 19.0.0git (https://github.com/RadeonOpenCompute/llvm-project roc-6.4.0 25133 c7fe45cf4b819c5991fe208aaa96edf142730f1d)"
	.section	".note.GNU-stack","",@progbits
	.addrsig
	.addrsig_sym __hip_cuid_a37cd347695de6d2
	.amdgpu_metadata
---
amdhsa.kernels:
  - .args:
      - .actual_access:  read_only
        .address_space:  global
        .offset:         0
        .size:           8
        .value_kind:     global_buffer
      - .offset:         8
        .size:           8
        .value_kind:     by_value
      - .actual_access:  read_only
        .address_space:  global
        .offset:         16
        .size:           8
        .value_kind:     global_buffer
      - .actual_access:  read_only
        .address_space:  global
        .offset:         24
        .size:           8
        .value_kind:     global_buffer
      - .offset:         32
        .size:           8
        .value_kind:     by_value
      - .actual_access:  read_only
        .address_space:  global
        .offset:         40
        .size:           8
        .value_kind:     global_buffer
      - .actual_access:  read_only
        .address_space:  global
        .offset:         48
        .size:           8
        .value_kind:     global_buffer
      - .offset:         56
        .size:           4
        .value_kind:     by_value
      - .actual_access:  read_only
        .address_space:  global
        .offset:         64
        .size:           8
        .value_kind:     global_buffer
      - .actual_access:  read_only
        .address_space:  global
        .offset:         72
        .size:           8
        .value_kind:     global_buffer
      - .address_space:  global
        .offset:         80
        .size:           8
        .value_kind:     global_buffer
    .group_segment_fixed_size: 0
    .kernarg_segment_align: 8
    .kernarg_segment_size: 88
    .language:       OpenCL C
    .language_version:
      - 2
      - 0
    .max_flat_workgroup_size: 52
    .name:           fft_rtc_fwd_len1092_factors_2_2_13_7_3_wgs_52_tpt_52_halfLds_dp_ip_CI_unitstride_sbrr_R2C_dirReg
    .private_segment_fixed_size: 176
    .sgpr_count:     46
    .sgpr_spill_count: 0
    .symbol:         fft_rtc_fwd_len1092_factors_2_2_13_7_3_wgs_52_tpt_52_halfLds_dp_ip_CI_unitstride_sbrr_R2C_dirReg.kd
    .uniform_work_group_size: 1
    .uses_dynamic_stack: false
    .vgpr_count:     256
    .vgpr_spill_count: 55
    .wavefront_size: 32
    .workgroup_processor_mode: 1
amdhsa.target:   amdgcn-amd-amdhsa--gfx1201
amdhsa.version:
  - 1
  - 2
...

	.end_amdgpu_metadata
